;; amdgpu-corpus repo=ROCm/rocFFT kind=compiled arch=gfx1100 opt=O3
	.text
	.amdgcn_target "amdgcn-amd-amdhsa--gfx1100"
	.amdhsa_code_object_version 6
	.protected	bluestein_single_fwd_len1755_dim1_dp_op_CI_CI ; -- Begin function bluestein_single_fwd_len1755_dim1_dp_op_CI_CI
	.globl	bluestein_single_fwd_len1755_dim1_dp_op_CI_CI
	.p2align	8
	.type	bluestein_single_fwd_len1755_dim1_dp_op_CI_CI,@function
bluestein_single_fwd_len1755_dim1_dp_op_CI_CI: ; @bluestein_single_fwd_len1755_dim1_dp_op_CI_CI
; %bb.0:
	s_load_b128 s[16:19], s[0:1], 0x28
	v_mul_u32_u24_e32 v1, 0x231, v0
	s_mov_b32 s2, exec_lo
	v_mov_b32_e32 v8, 0
	s_delay_alu instid0(VALU_DEP_2) | instskip(NEXT) | instid1(VALU_DEP_1)
	v_lshrrev_b32_e32 v1, 16, v1
	v_add_nc_u32_e32 v7, s15, v1
	s_waitcnt lgkmcnt(0)
	s_delay_alu instid0(VALU_DEP_1)
	v_cmpx_gt_u64_e64 s[16:17], v[7:8]
	s_cbranch_execz .LBB0_15
; %bb.1:
	s_clause 0x1
	s_load_b128 s[4:7], s[0:1], 0x18
	s_load_b64 s[2:3], s[0:1], 0x0
	v_mul_lo_u16 v1, 0x75, v1
	v_mov_b32_e32 v5, v7
	s_delay_alu instid0(VALU_DEP_2) | instskip(NEXT) | instid1(VALU_DEP_1)
	v_sub_nc_u16 v2, v0, v1
	v_and_b32_e32 v161, 0xffff, v2
	s_delay_alu instid0(VALU_DEP_1)
	v_lshlrev_b32_e32 v160, 4, v161
	s_waitcnt lgkmcnt(0)
	s_load_b128 s[8:11], s[4:5], 0x0
	s_clause 0x1
	global_load_b128 v[110:113], v160, s[2:3]
	global_load_b128 v[114:117], v160, s[2:3] offset:2160
	v_add_co_u32 v64, s4, s2, v160
	s_delay_alu instid0(VALU_DEP_1) | instskip(NEXT) | instid1(VALU_DEP_2)
	v_add_co_ci_u32_e64 v65, null, s3, 0, s4
	v_add_co_u32 v15, vcc_lo, 0x1000, v64
	s_delay_alu instid0(VALU_DEP_2)
	v_add_co_ci_u32_e32 v16, vcc_lo, 0, v65, vcc_lo
	scratch_store_b64 off, v[5:6], off offset:224 ; 8-byte Folded Spill
	v_add_co_u32 v13, vcc_lo, 0x2000, v64
	scratch_store_b64 off, v[15:16], off offset:216 ; 8-byte Folded Spill
	v_add_co_ci_u32_e32 v14, vcc_lo, 0, v65, vcc_lo
	v_add_co_u32 v11, vcc_lo, 0x3000, v64
	s_waitcnt lgkmcnt(0)
	v_mad_u64_u32 v[0:1], null, s10, v7, 0
	v_mad_u64_u32 v[3:4], null, s8, v161, 0
	v_add_co_ci_u32_e32 v12, vcc_lo, 0, v65, vcc_lo
	v_add_co_u32 v9, vcc_lo, 0x4000, v64
	s_delay_alu instid0(VALU_DEP_4) | instskip(SKIP_3) | instid1(VALU_DEP_4)
	v_mad_u64_u32 v[5:6], null, s11, v7, v[1:2]
	v_add_co_ci_u32_e32 v10, vcc_lo, 0, v65, vcc_lo
	v_add_co_u32 v49, vcc_lo, 0x5000, v64
	v_add_co_ci_u32_e32 v50, vcc_lo, 0, v65, vcc_lo
	v_mad_u64_u32 v[6:7], null, s9, v161, v[4:5]
	v_mov_b32_e32 v1, v5
	v_add_co_u32 v51, vcc_lo, 0x6000, v64
	v_add_co_ci_u32_e32 v52, vcc_lo, 0, v65, vcc_lo
	s_delay_alu instid0(VALU_DEP_3)
	v_lshlrev_b64 v[0:1], 4, v[0:1]
	v_mov_b32_e32 v4, v6
	s_mul_i32 s3, s9, 0x87
	s_mul_hi_u32 s4, s8, 0x87
	s_mul_i32 s2, s8, 0x87
	s_add_i32 s3, s4, s3
	v_lshlrev_b64 v[3:4], 4, v[3:4]
	v_add_co_u32 v0, vcc_lo, s18, v0
	v_add_co_ci_u32_e32 v1, vcc_lo, s19, v1, vcc_lo
	s_lshl_b64 s[12:13], s[2:3], 4
	s_delay_alu instid0(VALU_DEP_2) | instskip(NEXT) | instid1(VALU_DEP_2)
	v_add_co_u32 v0, vcc_lo, v0, v3
	v_add_co_ci_u32_e32 v1, vcc_lo, v1, v4, vcc_lo
	global_load_b128 v[162:165], v[15:16], off offset:224
	v_add_co_u32 v7, vcc_lo, v0, s12
	v_add_co_ci_u32_e32 v8, vcc_lo, s13, v1, vcc_lo
	s_clause 0x1
	global_load_b128 v[154:157], v[15:16], off offset:2384
	global_load_b128 v[142:145], v[13:14], off offset:448
	s_clause 0x2
	scratch_store_b64 off, v[13:14], off offset:208
	scratch_store_b64 off, v[11:12], off offset:200
	;; [unrolled: 1-line block ×3, first 2 shown]
	s_clause 0x1
	global_load_b128 v[146:149], v[11:12], off offset:672
	global_load_b128 v[134:137], v[11:12], off offset:2832
	v_add_co_u32 v11, vcc_lo, v7, s12
	v_add_co_ci_u32_e32 v12, vcc_lo, s13, v8, vcc_lo
	global_load_b128 v[130:133], v[13:14], off offset:2608
	v_add_co_u32 v15, vcc_lo, v11, s12
	v_add_co_ci_u32_e32 v16, vcc_lo, s13, v12, vcc_lo
	s_clause 0x1
	global_load_b128 v[126:129], v[9:10], off offset:896
	global_load_b128 v[122:125], v[9:10], off offset:3056
	s_clause 0x1
	global_load_b128 v[3:6], v[0:1], off
	global_load_b128 v[7:10], v[7:8], off
	v_add_co_u32 v0, vcc_lo, v15, s12
	v_add_co_ci_u32_e32 v1, vcc_lo, s13, v16, vcc_lo
	s_clause 0x1
	global_load_b128 v[11:14], v[11:12], off
	global_load_b128 v[15:18], v[15:16], off
	v_add_co_u32 v23, vcc_lo, v0, s12
	v_add_co_ci_u32_e32 v24, vcc_lo, s13, v1, vcc_lo
	global_load_b128 v[19:22], v[0:1], off
	v_add_co_u32 v0, vcc_lo, v23, s12
	v_add_co_ci_u32_e32 v1, vcc_lo, s13, v24, vcc_lo
	global_load_b128 v[150:153], v[49:50], off offset:1120
	v_add_co_u32 v31, vcc_lo, v0, s12
	v_add_co_ci_u32_e32 v32, vcc_lo, s13, v1, vcc_lo
	global_load_b128 v[27:30], v[0:1], off
	v_add_co_u32 v0, vcc_lo, v31, s12
	v_add_co_ci_u32_e32 v1, vcc_lo, s13, v32, vcc_lo
	scratch_store_b64 off, v[49:50], off offset:184 ; 8-byte Folded Spill
	v_add_co_u32 v39, vcc_lo, v0, s12
	v_add_co_ci_u32_e32 v40, vcc_lo, s13, v1, vcc_lo
	global_load_b128 v[35:38], v[0:1], off
	v_add_co_u32 v0, vcc_lo, v39, s12
	v_add_co_ci_u32_e32 v1, vcc_lo, s13, v40, vcc_lo
	global_load_b128 v[39:42], v[39:40], off
	v_add_co_u32 v47, vcc_lo, v0, s12
	v_add_co_ci_u32_e32 v48, vcc_lo, s13, v1, vcc_lo
	global_load_b128 v[43:46], v[0:1], off
	v_add_co_u32 v0, vcc_lo, v47, s12
	v_add_co_ci_u32_e32 v1, vcc_lo, s13, v48, vcc_lo
	global_load_b128 v[23:26], v[23:24], off
	global_load_b128 v[31:34], v[31:32], off
	global_load_b128 v[138:141], v[49:50], off offset:3280
	global_load_b128 v[47:50], v[47:48], off
	scratch_store_b64 off, v[51:52], off    ; 8-byte Folded Spill
	global_load_b128 v[118:121], v[51:52], off offset:1344
	global_load_b128 v[51:54], v[0:1], off
	v_cmp_gt_u16_e32 vcc_lo, 18, v2
	s_waitcnt vmcnt(25)
	scratch_store_b128 off, v[110:113], off offset:232 ; 16-byte Folded Spill
	s_waitcnt vmcnt(24)
	scratch_store_b128 off, v[114:117], off offset:248 ; 16-byte Folded Spill
	;; [unrolled: 2-line block ×9, first 2 shown]
	s_waitcnt vmcnt(15)
	v_mul_f64 v[55:56], v[5:6], v[112:113]
	v_mul_f64 v[57:58], v[3:4], v[112:113]
	s_waitcnt vmcnt(14)
	v_mul_f64 v[59:60], v[9:10], v[116:117]
	v_mul_f64 v[61:62], v[7:8], v[116:117]
	scratch_store_b128 off, v[122:125], off offset:280 ; 16-byte Folded Spill
	s_waitcnt vmcnt(13)
	v_mul_f64 v[66:67], v[13:14], v[164:165]
	v_mul_f64 v[68:69], v[11:12], v[164:165]
	s_waitcnt vmcnt(12)
	v_mul_f64 v[70:71], v[17:18], v[156:157]
	v_mul_f64 v[72:73], v[15:16], v[156:157]
	;; [unrolled: 3-line block ×3, first 2 shown]
	s_waitcnt vmcnt(10)
	scratch_store_b128 off, v[150:153], off offset:392 ; 16-byte Folded Spill
	s_waitcnt vmcnt(9)
	v_mul_f64 v[82:83], v[29:30], v[148:149]
	v_mul_f64 v[84:85], v[27:28], v[148:149]
	s_waitcnt vmcnt(8)
	v_mul_f64 v[90:91], v[37:38], v[128:129]
	v_mul_f64 v[92:93], v[35:36], v[128:129]
	;; [unrolled: 3-line block ×3, first 2 shown]
	v_fma_f64 v[3:4], v[3:4], v[110:111], v[55:56]
	v_fma_f64 v[5:6], v[5:6], v[110:111], -v[57:58]
	v_fma_f64 v[7:8], v[7:8], v[114:115], v[59:60]
	s_waitcnt vmcnt(6)
	v_mul_f64 v[98:99], v[45:46], v[152:153]
	v_mul_f64 v[100:101], v[43:44], v[152:153]
	v_fma_f64 v[9:10], v[9:10], v[114:115], -v[61:62]
	v_fma_f64 v[11:12], v[11:12], v[162:163], v[66:67]
	v_fma_f64 v[13:14], v[13:14], v[162:163], -v[68:69]
	s_waitcnt vmcnt(5)
	v_mul_f64 v[78:79], v[25:26], v[132:133]
	v_mul_f64 v[80:81], v[23:24], v[132:133]
	s_waitcnt vmcnt(2)
	v_mul_f64 v[102:103], v[49:50], v[140:141]
	s_waitcnt vmcnt(1)
	scratch_store_b128 off, v[118:121], off offset:264 ; 16-byte Folded Spill
	v_mul_f64 v[104:105], v[47:48], v[140:141]
	s_waitcnt vmcnt(0)
	v_mul_f64 v[106:107], v[53:54], v[120:121]
	v_mul_f64 v[108:109], v[51:52], v[120:121]
	;; [unrolled: 1-line block ×4, first 2 shown]
	v_fma_f64 v[15:16], v[15:16], v[154:155], v[70:71]
	v_fma_f64 v[17:18], v[17:18], v[154:155], -v[72:73]
	v_fma_f64 v[19:20], v[19:20], v[142:143], v[74:75]
	v_fma_f64 v[21:22], v[21:22], v[142:143], -v[76:77]
	;; [unrolled: 2-line block ×3, first 2 shown]
	scratch_store_b128 off, v[138:141], off offset:344 ; 16-byte Folded Spill
	s_load_b64 s[10:11], s[0:1], 0x38
	s_load_b128 s[4:7], s[6:7], 0x0
	v_fma_f64 v[35:36], v[35:36], v[126:127], v[90:91]
	v_fma_f64 v[37:38], v[37:38], v[126:127], -v[92:93]
	v_fma_f64 v[39:40], v[39:40], v[122:123], v[94:95]
	v_fma_f64 v[41:42], v[41:42], v[122:123], -v[96:97]
	;; [unrolled: 2-line block ×7, first 2 shown]
	ds_store_b128 v160, v[3:6]
	ds_store_b128 v160, v[7:10] offset:2160
	ds_store_b128 v160, v[11:14] offset:4320
	;; [unrolled: 1-line block ×12, first 2 shown]
	s_and_saveexec_b32 s3, vcc_lo
	s_cbranch_execz .LBB0_3
; %bb.2:
	v_mad_u64_u32 v[32:33], null, 0xffffa210, s8, v[0:1]
	s_clause 0x1
	global_load_b128 v[0:3], v[64:65], off offset:1872
	global_load_b128 v[4:7], v[64:65], off offset:4032
	scratch_load_b64 v[8:9], off, off offset:216 ; 8-byte Folded Reload
	s_mul_i32 s2, s9, 0xffffa210
	s_waitcnt vmcnt(0)
	global_load_b128 v[8:11], v[8:9], off offset:2096
	scratch_load_b64 v[16:17], off, off offset:208 ; 8-byte Folded Reload
	s_sub_i32 s2, s2, s8
	s_delay_alu instid0(SALU_CYCLE_1) | instskip(SKIP_1) | instid1(VALU_DEP_1)
	v_add_nc_u32_e32 v33, s2, v33
	v_add_co_u32 v36, s2, v32, s12
	v_add_co_ci_u32_e64 v37, s2, s13, v33, s2
	s_delay_alu instid0(VALU_DEP_2) | instskip(NEXT) | instid1(VALU_DEP_1)
	v_add_co_u32 v40, s2, v36, s12
	v_add_co_ci_u32_e64 v41, s2, s13, v37, s2
	s_delay_alu instid0(VALU_DEP_2) | instskip(NEXT) | instid1(VALU_DEP_1)
	;; [unrolled: 3-line block ×11, first 2 shown]
	v_add_co_u32 v102, s2, v90, s12
	v_add_co_ci_u32_e64 v103, s2, s13, v91, s2
	s_waitcnt vmcnt(0)
	s_clause 0x1
	global_load_b128 v[12:15], v[16:17], off offset:160
	global_load_b128 v[16:19], v[16:17], off offset:2320
	scratch_load_b64 v[24:25], off, off offset:200 ; 8-byte Folded Reload
	s_waitcnt vmcnt(0)
	s_clause 0x1
	global_load_b128 v[20:23], v[24:25], off offset:384
	global_load_b128 v[24:27], v[24:25], off offset:2544
	scratch_load_b64 v[76:77], off, off offset:192 ; 8-byte Folded Reload
	global_load_b128 v[32:35], v[32:33], off
	global_load_b128 v[36:39], v[36:37], off
	;; [unrolled: 1-line block ×5, first 2 shown]
	s_waitcnt vmcnt(5)
	global_load_b128 v[28:31], v[76:77], off offset:608
	global_load_b128 v[52:55], v[52:53], off
	global_load_b128 v[56:59], v[56:57], off
	;; [unrolled: 1-line block ×5, first 2 shown]
	global_load_b128 v[74:77], v[76:77], off offset:2768
	scratch_load_b64 v[86:87], off, off offset:184 ; 8-byte Folded Reload
	global_load_b128 v[82:85], v[82:83], off
	s_waitcnt vmcnt(13)
	v_mul_f64 v[106:107], v[34:35], v[2:3]
	v_mul_f64 v[2:3], v[32:33], v[2:3]
	s_waitcnt vmcnt(12)
	v_mul_f64 v[108:109], v[38:39], v[6:7]
	v_mul_f64 v[6:7], v[36:37], v[6:7]
	s_waitcnt vmcnt(11)
	v_mul_f64 v[110:111], v[42:43], v[10:11]
	v_mul_f64 v[10:11], v[40:41], v[10:11]
	s_waitcnt vmcnt(10)
	v_mul_f64 v[112:113], v[46:47], v[14:15]
	v_mul_f64 v[14:15], v[44:45], v[14:15]
	s_waitcnt vmcnt(9)
	v_mul_f64 v[114:115], v[50:51], v[18:19]
	v_mul_f64 v[18:19], v[48:49], v[18:19]
	s_waitcnt vmcnt(7)
	v_mul_f64 v[116:117], v[54:55], v[22:23]
	v_mul_f64 v[22:23], v[52:53], v[22:23]
	s_waitcnt vmcnt(6)
	v_mul_f64 v[118:119], v[58:59], v[26:27]
	v_mul_f64 v[26:27], v[56:57], v[26:27]
	s_waitcnt vmcnt(5)
	v_mul_f64 v[120:121], v[62:63], v[30:31]
	s_waitcnt vmcnt(1)
	s_clause 0x1
	global_load_b128 v[78:81], v[86:87], off offset:832
	global_load_b128 v[86:89], v[86:87], off offset:2992
	global_load_b128 v[90:93], v[90:91], off
	scratch_load_b64 v[98:99], off, off     ; 8-byte Folded Reload
	v_mul_f64 v[122:123], v[60:61], v[30:31]
	v_mul_f64 v[124:125], v[68:69], v[76:77]
	;; [unrolled: 1-line block ×3, first 2 shown]
	v_fma_f64 v[30:31], v[32:33], v[0:1], v[106:107]
	v_fma_f64 v[32:33], v[34:35], v[0:1], -v[2:3]
	v_fma_f64 v[0:1], v[36:37], v[4:5], v[108:109]
	v_fma_f64 v[2:3], v[38:39], v[4:5], -v[6:7]
	v_fma_f64 v[4:5], v[40:41], v[8:9], v[110:111]
	v_fma_f64 v[6:7], v[42:43], v[8:9], -v[10:11]
	v_fma_f64 v[8:9], v[44:45], v[12:13], v[112:113]
	v_fma_f64 v[10:11], v[46:47], v[12:13], -v[14:15]
	v_fma_f64 v[12:13], v[48:49], v[16:17], v[114:115]
	v_fma_f64 v[14:15], v[50:51], v[16:17], -v[18:19]
	s_waitcnt vmcnt(0)
	s_clause 0x1
	global_load_b128 v[94:97], v[98:99], off offset:1056
	global_load_b128 v[98:101], v[98:99], off offset:3216
	global_load_b128 v[102:105], v[102:103], off
	v_mul_f64 v[126:127], v[72:73], v[80:81]
	v_mul_f64 v[80:81], v[70:71], v[80:81]
	;; [unrolled: 1-line block ×4, first 2 shown]
	v_fma_f64 v[16:17], v[52:53], v[20:21], v[116:117]
	v_fma_f64 v[18:19], v[54:55], v[20:21], -v[22:23]
	v_fma_f64 v[20:21], v[56:57], v[24:25], v[118:119]
	v_fma_f64 v[22:23], v[58:59], v[24:25], -v[26:27]
	;; [unrolled: 2-line block ×6, first 2 shown]
	s_waitcnt vmcnt(2)
	v_mul_f64 v[130:131], v[92:93], v[96:97]
	v_mul_f64 v[96:97], v[90:91], v[96:97]
	s_waitcnt vmcnt(0)
	v_mul_f64 v[132:133], v[104:105], v[100:101]
	v_mul_f64 v[100:101], v[102:103], v[100:101]
	s_delay_alu instid0(VALU_DEP_4) | instskip(NEXT) | instid1(VALU_DEP_4)
	v_fma_f64 v[46:47], v[90:91], v[94:95], v[130:131]
	v_fma_f64 v[48:49], v[92:93], v[94:95], -v[96:97]
	s_delay_alu instid0(VALU_DEP_4) | instskip(NEXT) | instid1(VALU_DEP_4)
	v_fma_f64 v[50:51], v[102:103], v[98:99], v[132:133]
	v_fma_f64 v[52:53], v[104:105], v[98:99], -v[100:101]
	ds_store_b128 v160, v[30:33] offset:1872
	ds_store_b128 v160, v[0:3] offset:4032
	;; [unrolled: 1-line block ×13, first 2 shown]
.LBB0_3:
	s_or_b32 exec_lo, exec_lo, s3
	s_waitcnt lgkmcnt(0)
	s_waitcnt_vscnt null, 0x0
	s_barrier
	buffer_gl0_inv
	ds_load_b128 v[52:55], v160
	ds_load_b128 v[8:11], v160 offset:2160
	ds_load_b128 v[12:15], v160 offset:4320
	ds_load_b128 v[20:23], v160 offset:6480
	ds_load_b128 v[28:31], v160 offset:8640
	ds_load_b128 v[36:39], v160 offset:10800
	ds_load_b128 v[44:47], v160 offset:12960
	ds_load_b128 v[40:43], v160 offset:15120
	ds_load_b128 v[32:35], v160 offset:17280
	ds_load_b128 v[24:27], v160 offset:19440
	ds_load_b128 v[16:19], v160 offset:21600
	ds_load_b128 v[60:63], v160 offset:23760
	ds_load_b128 v[56:59], v160 offset:25920
	s_load_b64 s[2:3], s[0:1], 0x8
                                        ; implicit-def: $vgpr0_vgpr1
                                        ; implicit-def: $vgpr4_vgpr5
                                        ; implicit-def: $vgpr72_vgpr73
                                        ; implicit-def: $vgpr76_vgpr77
                                        ; implicit-def: $vgpr104_vgpr105
                                        ; implicit-def: $vgpr108_vgpr109
                                        ; implicit-def: $vgpr112_vgpr113
                                        ; implicit-def: $vgpr116_vgpr117
                                        ; implicit-def: $vgpr120_vgpr121
                                        ; implicit-def: $vgpr124_vgpr125
                                        ; implicit-def: $vgpr128_vgpr129
                                        ; implicit-def: $vgpr132_vgpr133
                                        ; implicit-def: $vgpr136_vgpr137
	s_and_saveexec_b32 s0, vcc_lo
	s_cbranch_execz .LBB0_5
; %bb.4:
	ds_load_b128 v[0:3], v160 offset:1872
	ds_load_b128 v[4:7], v160 offset:4032
	;; [unrolled: 1-line block ×13, first 2 shown]
.LBB0_5:
	s_or_b32 exec_lo, exec_lo, s0
	s_waitcnt lgkmcnt(0)
	v_add_f64 v[48:49], v[52:53], v[8:9]
	v_add_f64 v[50:51], v[54:55], v[10:11]
	v_add_f64 v[68:69], v[44:45], -v[40:41]
	v_add_f64 v[70:71], v[46:47], -v[42:43]
	;; [unrolled: 1-line block ×8, first 2 shown]
	s_mov_b32 s36, 0x4267c47c
	s_mov_b32 s26, 0x42a4c3d2
	;; [unrolled: 1-line block ×28, first 2 shown]
	v_add_f64 v[48:49], v[48:49], v[12:13]
	v_add_f64 v[50:51], v[50:51], v[14:15]
	s_mov_b32 s35, 0x3fddbe06
	v_mul_f64 v[158:159], v[70:71], s[24:25]
	v_mul_f64 v[152:153], v[82:83], s[20:21]
	s_mov_b32 s34, s36
	s_mov_b32 s45, 0x3fedeba7
	;; [unrolled: 1-line block ×7, first 2 shown]
	v_add_f64 v[170:171], v[104:105], -v[124:125]
	v_add_f64 v[172:173], v[110:111], -v[122:123]
	;; [unrolled: 1-line block ×5, first 2 shown]
	v_add_f64 v[48:49], v[48:49], v[20:21]
	v_add_f64 v[50:51], v[50:51], v[22:23]
	s_delay_alu instid0(VALU_DEP_2) | instskip(NEXT) | instid1(VALU_DEP_2)
	v_add_f64 v[48:49], v[48:49], v[28:29]
	v_add_f64 v[50:51], v[50:51], v[30:31]
	s_delay_alu instid0(VALU_DEP_2) | instskip(NEXT) | instid1(VALU_DEP_2)
	;; [unrolled: 3-line block ×3, first 2 shown]
	v_add_f64 v[66:67], v[48:49], v[44:45]
	v_add_f64 v[80:81], v[50:51], v[46:47]
	;; [unrolled: 1-line block ×4, first 2 shown]
	s_delay_alu instid0(VALU_DEP_4) | instskip(NEXT) | instid1(VALU_DEP_4)
	v_add_f64 v[44:45], v[66:67], v[40:41]
	v_add_f64 v[46:47], v[80:81], v[42:43]
	;; [unrolled: 1-line block ×4, first 2 shown]
	v_add_f64 v[66:67], v[36:37], -v[32:33]
	v_add_f64 v[80:81], v[38:39], -v[34:35]
	v_add_f64 v[36:37], v[44:45], v[32:33]
	v_add_f64 v[38:39], v[46:47], v[34:35]
	;; [unrolled: 1-line block ×6, first 2 shown]
	v_mul_f64 v[154:155], v[80:81], s[22:23]
	v_mul_f64 v[156:157], v[66:67], s[22:23]
	v_add_f64 v[24:25], v[36:37], v[24:25]
	v_add_f64 v[26:27], v[38:39], v[26:27]
	;; [unrolled: 1-line block ×4, first 2 shown]
	s_delay_alu instid0(VALU_DEP_4) | instskip(NEXT) | instid1(VALU_DEP_4)
	v_add_f64 v[16:17], v[24:25], v[16:17]
	v_add_f64 v[18:19], v[26:27], v[18:19]
	s_delay_alu instid0(VALU_DEP_2) | instskip(NEXT) | instid1(VALU_DEP_2)
	v_add_f64 v[12:13], v[16:17], v[60:61]
	v_add_f64 v[14:15], v[18:19], v[62:63]
	v_add_f64 v[16:17], v[10:11], -v[58:59]
	v_add_f64 v[18:19], v[8:9], v[56:57]
	v_add_f64 v[8:9], v[8:9], -v[56:57]
	v_add_f64 v[10:11], v[10:11], v[58:59]
	v_add_f64 v[140:141], v[12:13], v[56:57]
	;; [unrolled: 1-line block ×3, first 2 shown]
	v_mul_f64 v[12:13], v[16:17], s[36:37]
	v_mul_f64 v[14:15], v[16:17], s[26:27]
	;; [unrolled: 1-line block ×10, first 2 shown]
	v_fma_f64 v[26:27], v[18:19], s[18:19], -v[12:13]
	v_fma_f64 v[12:13], v[18:19], s[18:19], v[12:13]
	v_fma_f64 v[28:29], v[18:19], s[16:17], -v[14:15]
	v_fma_f64 v[14:15], v[18:19], s[16:17], v[14:15]
	v_fma_f64 v[30:31], v[18:19], s[14:15], -v[20:21]
	v_fma_f64 v[20:21], v[18:19], s[14:15], v[20:21]
	v_fma_f64 v[56:57], v[18:19], s[12:13], -v[22:23]
	v_fma_f64 v[22:23], v[18:19], s[12:13], v[22:23]
	v_fma_f64 v[58:59], v[18:19], s[8:9], -v[24:25]
	v_fma_f64 v[24:25], v[18:19], s[8:9], v[24:25]
	v_fma_f64 v[60:61], v[18:19], s[0:1], -v[16:17]
	v_fma_f64 v[16:17], v[18:19], s[0:1], v[16:17]
	v_mul_f64 v[18:19], v[8:9], s[36:37]
	v_mul_f64 v[8:9], v[8:9], s[24:25]
	v_fma_f64 v[102:103], v[10:11], s[16:17], v[62:63]
	v_fma_f64 v[62:63], v[10:11], s[16:17], -v[62:63]
	v_fma_f64 v[144:145], v[10:11], s[14:15], v[94:95]
	v_fma_f64 v[94:95], v[10:11], s[14:15], -v[94:95]
	;; [unrolled: 2-line block ×4, first 2 shown]
	v_add_f64 v[12:13], v[52:53], v[12:13]
	v_add_f64 v[28:29], v[52:53], v[28:29]
	;; [unrolled: 1-line block ×10, first 2 shown]
	v_fma_f64 v[100:101], v[10:11], s[18:19], v[18:19]
	v_fma_f64 v[18:19], v[10:11], s[18:19], -v[18:19]
	v_fma_f64 v[150:151], v[10:11], s[0:1], v[8:9]
	v_fma_f64 v[8:9], v[10:11], s[0:1], -v[8:9]
	v_add_f64 v[10:11], v[52:53], v[26:27]
	v_add_f64 v[62:63], v[54:55], v[62:63]
	;; [unrolled: 1-line block ×8, first 2 shown]
	v_mul_f64 v[148:149], v[86:87], s[28:29]
	v_add_f64 v[26:27], v[54:55], v[100:101]
	v_add_f64 v[18:19], v[54:55], v[18:19]
	;; [unrolled: 1-line block ×6, first 2 shown]
	v_mul_f64 v[8:9], v[92:93], s[26:27]
	v_mul_f64 v[150:151], v[84:85], s[20:21]
	s_delay_alu instid0(VALU_DEP_2) | instskip(SKIP_1) | instid1(VALU_DEP_2)
	v_fma_f64 v[16:17], v[44:45], s[16:17], -v[8:9]
	v_fma_f64 v[8:9], v[44:45], s[16:17], v[8:9]
	v_add_f64 v[10:11], v[16:17], v[10:11]
	v_mul_f64 v[16:17], v[90:91], s[26:27]
	s_delay_alu instid0(VALU_DEP_3) | instskip(NEXT) | instid1(VALU_DEP_2)
	v_add_f64 v[8:9], v[8:9], v[12:13]
	v_fma_f64 v[22:23], v[46:47], s[16:17], v[16:17]
	v_fma_f64 v[12:13], v[46:47], s[16:17], -v[16:17]
	s_delay_alu instid0(VALU_DEP_2) | instskip(SKIP_1) | instid1(VALU_DEP_3)
	v_add_f64 v[22:23], v[22:23], v[26:27]
	v_mul_f64 v[26:27], v[88:89], s[28:29]
	v_add_f64 v[12:13], v[12:13], v[18:19]
	v_mul_f64 v[18:19], v[88:89], s[24:25]
	s_delay_alu instid0(VALU_DEP_3) | instskip(SKIP_1) | instid1(VALU_DEP_2)
	v_fma_f64 v[144:145], v[36:37], s[14:15], -v[26:27]
	v_fma_f64 v[16:17], v[36:37], s[14:15], v[26:27]
	v_add_f64 v[10:11], v[144:145], v[10:11]
	v_fma_f64 v[144:145], v[38:39], s[14:15], v[148:149]
	s_delay_alu instid0(VALU_DEP_3) | instskip(SKIP_1) | instid1(VALU_DEP_3)
	v_add_f64 v[8:9], v[16:17], v[8:9]
	v_fma_f64 v[16:17], v[38:39], s[14:15], -v[148:149]
	v_add_f64 v[22:23], v[144:145], v[22:23]
	v_fma_f64 v[144:145], v[32:33], s[12:13], -v[150:151]
	s_delay_alu instid0(VALU_DEP_3) | instskip(SKIP_1) | instid1(VALU_DEP_3)
	v_add_f64 v[12:13], v[16:17], v[12:13]
	v_fma_f64 v[16:17], v[32:33], s[12:13], v[150:151]
	v_add_f64 v[10:11], v[144:145], v[10:11]
	v_fma_f64 v[144:145], v[34:35], s[12:13], v[152:153]
	s_delay_alu instid0(VALU_DEP_3) | instskip(SKIP_1) | instid1(VALU_DEP_3)
	v_add_f64 v[8:9], v[16:17], v[8:9]
	v_fma_f64 v[16:17], v[34:35], s[12:13], -v[152:153]
	v_add_f64 v[22:23], v[144:145], v[22:23]
	v_fma_f64 v[144:145], v[40:41], s[8:9], -v[154:155]
	s_delay_alu instid0(VALU_DEP_3) | instskip(SKIP_1) | instid1(VALU_DEP_3)
	v_add_f64 v[12:13], v[16:17], v[12:13]
	v_fma_f64 v[16:17], v[40:41], s[8:9], v[154:155]
	v_add_f64 v[10:11], v[144:145], v[10:11]
	v_fma_f64 v[144:145], v[42:43], s[8:9], v[156:157]
	s_delay_alu instid0(VALU_DEP_3) | instskip(SKIP_2) | instid1(VALU_DEP_4)
	v_add_f64 v[8:9], v[16:17], v[8:9]
	v_fma_f64 v[16:17], v[42:43], s[8:9], -v[156:157]
	v_mul_f64 v[156:157], v[66:67], s[30:31]
	v_add_f64 v[22:23], v[144:145], v[22:23]
	v_fma_f64 v[144:145], v[48:49], s[0:1], -v[158:159]
	s_delay_alu instid0(VALU_DEP_4) | instskip(SKIP_2) | instid1(VALU_DEP_4)
	v_add_f64 v[12:13], v[16:17], v[12:13]
	v_fma_f64 v[16:17], v[48:49], s[0:1], v[158:159]
	v_mul_f64 v[158:159], v[70:71], s[34:35]
	v_add_f64 v[144:145], v[144:145], v[10:11]
	v_mul_f64 v[10:11], v[68:69], s[24:25]
	s_delay_alu instid0(VALU_DEP_4) | instskip(SKIP_1) | instid1(VALU_DEP_3)
	v_add_f64 v[148:149], v[16:17], v[8:9]
	v_mul_f64 v[8:9], v[92:93], s[20:21]
	v_fma_f64 v[146:147], v[50:51], s[0:1], v[10:11]
	v_fma_f64 v[10:11], v[50:51], s[0:1], -v[10:11]
	s_delay_alu instid0(VALU_DEP_2) | instskip(NEXT) | instid1(VALU_DEP_2)
	v_add_f64 v[146:147], v[146:147], v[22:23]
	v_add_f64 v[150:151], v[10:11], v[12:13]
	v_fma_f64 v[10:11], v[44:45], s[12:13], -v[8:9]
	v_mul_f64 v[12:13], v[90:91], s[20:21]
	v_fma_f64 v[22:23], v[36:37], s[0:1], -v[18:19]
	v_fma_f64 v[8:9], v[44:45], s[12:13], v[8:9]
	s_delay_alu instid0(VALU_DEP_4) | instskip(NEXT) | instid1(VALU_DEP_4)
	v_add_f64 v[10:11], v[10:11], v[28:29]
	v_fma_f64 v[16:17], v[46:47], s[12:13], v[12:13]
	v_fma_f64 v[12:13], v[46:47], s[12:13], -v[12:13]
	s_delay_alu instid0(VALU_DEP_4)
	v_add_f64 v[8:9], v[8:9], v[14:15]
	v_fma_f64 v[14:15], v[36:37], s[0:1], v[18:19]
	v_mul_f64 v[18:19], v[90:91], s[24:25]
	v_add_f64 v[10:11], v[22:23], v[10:11]
	v_mul_f64 v[22:23], v[86:87], s[24:25]
	v_add_f64 v[16:17], v[16:17], v[100:101]
	v_add_f64 v[12:13], v[12:13], v[62:63]
	;; [unrolled: 1-line block ×3, first 2 shown]
	s_delay_alu instid0(VALU_DEP_4) | instskip(SKIP_2) | instid1(VALU_DEP_3)
	v_fma_f64 v[26:27], v[38:39], s[0:1], v[22:23]
	v_fma_f64 v[14:15], v[38:39], s[0:1], -v[22:23]
	v_mul_f64 v[22:23], v[88:89], s[44:45]
	v_add_f64 v[16:17], v[26:27], v[16:17]
	v_mul_f64 v[26:27], v[84:85], s[40:41]
	s_delay_alu instid0(VALU_DEP_4) | instskip(NEXT) | instid1(VALU_DEP_2)
	v_add_f64 v[12:13], v[14:15], v[12:13]
	v_fma_f64 v[28:29], v[32:33], s[8:9], -v[26:27]
	v_fma_f64 v[14:15], v[32:33], s[8:9], v[26:27]
	v_fma_f64 v[26:27], v[36:37], s[12:13], -v[22:23]
	s_delay_alu instid0(VALU_DEP_3) | instskip(SKIP_1) | instid1(VALU_DEP_4)
	v_add_f64 v[10:11], v[28:29], v[10:11]
	v_mul_f64 v[28:29], v[82:83], s[40:41]
	v_add_f64 v[8:9], v[14:15], v[8:9]
	s_delay_alu instid0(VALU_DEP_2) | instskip(SKIP_1) | instid1(VALU_DEP_2)
	v_fma_f64 v[100:101], v[34:35], s[8:9], v[28:29]
	v_fma_f64 v[14:15], v[34:35], s[8:9], -v[28:29]
	v_add_f64 v[16:17], v[100:101], v[16:17]
	v_mul_f64 v[100:101], v[80:81], s[30:31]
	s_delay_alu instid0(VALU_DEP_3) | instskip(NEXT) | instid1(VALU_DEP_2)
	v_add_f64 v[12:13], v[14:15], v[12:13]
	v_fma_f64 v[152:153], v[40:41], s[14:15], -v[100:101]
	v_fma_f64 v[14:15], v[40:41], s[14:15], v[100:101]
	s_delay_alu instid0(VALU_DEP_2) | instskip(SKIP_1) | instid1(VALU_DEP_3)
	v_add_f64 v[10:11], v[152:153], v[10:11]
	v_fma_f64 v[152:153], v[42:43], s[14:15], v[156:157]
	v_add_f64 v[8:9], v[14:15], v[8:9]
	v_fma_f64 v[14:15], v[42:43], s[14:15], -v[156:157]
	s_delay_alu instid0(VALU_DEP_3) | instskip(SKIP_1) | instid1(VALU_DEP_3)
	v_add_f64 v[16:17], v[152:153], v[16:17]
	v_fma_f64 v[152:153], v[48:49], s[18:19], -v[158:159]
	v_add_f64 v[12:13], v[14:15], v[12:13]
	v_fma_f64 v[14:15], v[48:49], s[18:19], v[158:159]
	s_delay_alu instid0(VALU_DEP_3) | instskip(SKIP_1) | instid1(VALU_DEP_3)
	v_add_f64 v[152:153], v[152:153], v[10:11]
	v_mul_f64 v[10:11], v[68:69], s[34:35]
	v_add_f64 v[8:9], v[14:15], v[8:9]
	v_fma_f64 v[14:15], v[46:47], s[0:1], v[18:19]
	v_fma_f64 v[18:19], v[46:47], s[0:1], -v[18:19]
	s_delay_alu instid0(VALU_DEP_4) | instskip(SKIP_1) | instid1(VALU_DEP_4)
	v_fma_f64 v[154:155], v[50:51], s[18:19], v[10:11]
	v_fma_f64 v[10:11], v[50:51], s[18:19], -v[10:11]
	v_add_f64 v[14:15], v[14:15], v[102:103]
	s_delay_alu instid0(VALU_DEP_4) | instskip(SKIP_4) | instid1(VALU_DEP_2)
	v_add_f64 v[18:19], v[18:19], v[94:95]
	v_mul_f64 v[94:95], v[80:81], s[42:43]
	v_add_f64 v[154:155], v[154:155], v[16:17]
	v_mul_f64 v[16:17], v[92:93], s[24:25]
	v_add_f64 v[10:11], v[10:11], v[12:13]
	v_fma_f64 v[12:13], v[44:45], s[0:1], -v[16:17]
	v_fma_f64 v[16:17], v[44:45], s[0:1], v[16:17]
	s_delay_alu instid0(VALU_DEP_2) | instskip(NEXT) | instid1(VALU_DEP_2)
	v_add_f64 v[12:13], v[12:13], v[30:31]
	v_add_f64 v[16:17], v[16:17], v[20:21]
	v_fma_f64 v[20:21], v[36:37], s[12:13], v[22:23]
	s_delay_alu instid0(VALU_DEP_3) | instskip(SKIP_1) | instid1(VALU_DEP_3)
	v_add_f64 v[12:13], v[26:27], v[12:13]
	v_mul_f64 v[26:27], v[86:87], s[44:45]
	v_add_f64 v[16:17], v[20:21], v[16:17]
	s_delay_alu instid0(VALU_DEP_2) | instskip(SKIP_2) | instid1(VALU_DEP_3)
	v_fma_f64 v[28:29], v[38:39], s[12:13], v[26:27]
	v_fma_f64 v[20:21], v[38:39], s[12:13], -v[26:27]
	v_mul_f64 v[26:27], v[90:91], s[40:41]
	v_add_f64 v[14:15], v[28:29], v[14:15]
	v_mul_f64 v[28:29], v[84:85], s[34:35]
	s_delay_alu instid0(VALU_DEP_4) | instskip(NEXT) | instid1(VALU_DEP_2)
	v_add_f64 v[18:19], v[20:21], v[18:19]
	v_fma_f64 v[30:31], v[32:33], s[18:19], -v[28:29]
	v_fma_f64 v[20:21], v[32:33], s[18:19], v[28:29]
	v_mul_f64 v[28:29], v[88:89], s[34:35]
	s_delay_alu instid0(VALU_DEP_3) | instskip(SKIP_1) | instid1(VALU_DEP_4)
	v_add_f64 v[12:13], v[30:31], v[12:13]
	v_mul_f64 v[30:31], v[82:83], s[34:35]
	v_add_f64 v[16:17], v[20:21], v[16:17]
	s_delay_alu instid0(VALU_DEP_2) | instskip(SKIP_2) | instid1(VALU_DEP_3)
	v_fma_f64 v[62:63], v[34:35], s[18:19], v[30:31]
	v_fma_f64 v[20:21], v[34:35], s[18:19], -v[30:31]
	v_mul_f64 v[30:31], v[86:87], s[34:35]
	v_add_f64 v[14:15], v[62:63], v[14:15]
	v_mul_f64 v[62:63], v[80:81], s[26:27]
	s_delay_alu instid0(VALU_DEP_4) | instskip(NEXT) | instid1(VALU_DEP_2)
	v_add_f64 v[18:19], v[20:21], v[18:19]
	v_fma_f64 v[100:101], v[40:41], s[16:17], -v[62:63]
	v_fma_f64 v[20:21], v[40:41], s[16:17], v[62:63]
	v_mul_f64 v[62:63], v[82:83], s[28:29]
	s_delay_alu instid0(VALU_DEP_3) | instskip(SKIP_1) | instid1(VALU_DEP_4)
	v_add_f64 v[12:13], v[100:101], v[12:13]
	v_mul_f64 v[100:101], v[66:67], s[26:27]
	v_add_f64 v[16:17], v[20:21], v[16:17]
	s_delay_alu instid0(VALU_DEP_2) | instskip(SKIP_2) | instid1(VALU_DEP_3)
	v_fma_f64 v[102:103], v[42:43], s[16:17], v[100:101]
	v_fma_f64 v[20:21], v[42:43], s[16:17], -v[100:101]
	v_mul_f64 v[100:101], v[66:67], s[42:43]
	v_add_f64 v[14:15], v[102:103], v[14:15]
	v_mul_f64 v[102:103], v[70:71], s[22:23]
	s_delay_alu instid0(VALU_DEP_4) | instskip(NEXT) | instid1(VALU_DEP_2)
	v_add_f64 v[18:19], v[20:21], v[18:19]
	v_fma_f64 v[156:157], v[48:49], s[8:9], -v[102:103]
	v_fma_f64 v[20:21], v[48:49], s[8:9], v[102:103]
	v_mul_f64 v[102:103], v[70:71], s[38:39]
	s_delay_alu instid0(VALU_DEP_3) | instskip(SKIP_1) | instid1(VALU_DEP_1)
	v_add_f64 v[12:13], v[156:157], v[12:13]
	v_mul_f64 v[156:157], v[68:69], s[22:23]
	v_fma_f64 v[158:159], v[50:51], s[8:9], v[156:157]
	v_fma_f64 v[22:23], v[50:51], s[8:9], -v[156:157]
	v_add_f64 v[156:157], v[20:21], v[16:17]
	v_mul_f64 v[16:17], v[92:93], s[40:41]
	v_fma_f64 v[20:21], v[46:47], s[8:9], v[26:27]
	v_fma_f64 v[26:27], v[46:47], s[8:9], -v[26:27]
	v_add_f64 v[14:15], v[158:159], v[14:15]
	v_add_f64 v[158:159], v[22:23], v[18:19]
	v_fma_f64 v[22:23], v[36:37], s[18:19], -v[28:29]
	v_fma_f64 v[18:19], v[44:45], s[8:9], -v[16:17]
	v_add_f64 v[20:21], v[20:21], v[162:163]
	v_fma_f64 v[16:17], v[44:45], s[8:9], v[16:17]
	v_fma_f64 v[28:29], v[36:37], s[18:19], v[28:29]
	v_add_f64 v[26:27], v[26:27], v[96:97]
	v_add_f64 v[18:19], v[18:19], v[56:57]
	v_mul_f64 v[56:57], v[84:85], s[28:29]
	v_add_f64 v[16:17], v[16:17], v[164:165]
	s_delay_alu instid0(VALU_DEP_3) | instskip(SKIP_1) | instid1(VALU_DEP_3)
	v_add_f64 v[18:19], v[22:23], v[18:19]
	v_fma_f64 v[22:23], v[38:39], s[18:19], v[30:31]
	v_add_f64 v[16:17], v[28:29], v[16:17]
	v_fma_f64 v[28:29], v[38:39], s[18:19], -v[30:31]
	s_delay_alu instid0(VALU_DEP_3) | instskip(SKIP_1) | instid1(VALU_DEP_3)
	v_add_f64 v[20:21], v[22:23], v[20:21]
	v_fma_f64 v[22:23], v[32:33], s[14:15], -v[56:57]
	v_add_f64 v[26:27], v[28:29], v[26:27]
	v_fma_f64 v[28:29], v[32:33], s[14:15], v[56:57]
	v_mul_f64 v[56:57], v[90:91], s[30:31]
	s_delay_alu instid0(VALU_DEP_4) | instskip(SKIP_1) | instid1(VALU_DEP_4)
	v_add_f64 v[18:19], v[22:23], v[18:19]
	v_fma_f64 v[22:23], v[34:35], s[14:15], v[62:63]
	v_add_f64 v[16:17], v[28:29], v[16:17]
	v_fma_f64 v[28:29], v[34:35], s[14:15], -v[62:63]
	v_fma_f64 v[30:31], v[46:47], s[14:15], v[56:57]
	s_delay_alu instid0(VALU_DEP_4) | instskip(SKIP_1) | instid1(VALU_DEP_4)
	v_add_f64 v[20:21], v[22:23], v[20:21]
	v_fma_f64 v[22:23], v[40:41], s[0:1], -v[94:95]
	v_add_f64 v[26:27], v[28:29], v[26:27]
	v_fma_f64 v[28:29], v[40:41], s[0:1], v[94:95]
	v_add_f64 v[30:31], v[30:31], v[166:167]
	s_delay_alu instid0(VALU_DEP_4) | instskip(SKIP_1) | instid1(VALU_DEP_4)
	v_add_f64 v[18:19], v[22:23], v[18:19]
	v_fma_f64 v[22:23], v[42:43], s[0:1], v[100:101]
	v_add_f64 v[16:17], v[28:29], v[16:17]
	v_fma_f64 v[28:29], v[42:43], s[0:1], -v[100:101]
	s_delay_alu instid0(VALU_DEP_3) | instskip(SKIP_1) | instid1(VALU_DEP_3)
	v_add_f64 v[22:23], v[22:23], v[20:21]
	v_fma_f64 v[20:21], v[48:49], s[16:17], -v[102:103]
	v_add_f64 v[26:27], v[28:29], v[26:27]
	v_fma_f64 v[28:29], v[48:49], s[16:17], v[102:103]
	s_delay_alu instid0(VALU_DEP_3) | instskip(SKIP_1) | instid1(VALU_DEP_3)
	v_add_f64 v[20:21], v[20:21], v[18:19]
	v_mul_f64 v[18:19], v[68:69], s[38:39]
	v_add_f64 v[16:17], v[28:29], v[16:17]
	s_delay_alu instid0(VALU_DEP_2) | instskip(SKIP_1) | instid1(VALU_DEP_2)
	v_fma_f64 v[162:163], v[50:51], s[16:17], v[18:19]
	v_fma_f64 v[18:19], v[50:51], s[16:17], -v[18:19]
	v_add_f64 v[22:23], v[162:163], v[22:23]
	s_delay_alu instid0(VALU_DEP_2) | instskip(SKIP_1) | instid1(VALU_DEP_1)
	v_add_f64 v[18:19], v[18:19], v[26:27]
	v_mul_f64 v[26:27], v[92:93], s[30:31]
	v_fma_f64 v[28:29], v[44:45], s[14:15], -v[26:27]
	v_fma_f64 v[26:27], v[44:45], s[14:15], v[26:27]
	s_delay_alu instid0(VALU_DEP_2) | instskip(SKIP_1) | instid1(VALU_DEP_3)
	v_add_f64 v[28:29], v[28:29], v[58:59]
	v_mul_f64 v[58:59], v[88:89], s[26:27]
	v_add_f64 v[24:25], v[26:27], v[24:25]
	v_fma_f64 v[26:27], v[46:47], s[14:15], -v[56:57]
	s_delay_alu instid0(VALU_DEP_3) | instskip(SKIP_1) | instid1(VALU_DEP_3)
	v_fma_f64 v[62:63], v[36:37], s[16:17], -v[58:59]
	v_fma_f64 v[56:57], v[36:37], s[16:17], v[58:59]
	v_add_f64 v[26:27], v[26:27], v[98:99]
	s_delay_alu instid0(VALU_DEP_3) | instskip(SKIP_1) | instid1(VALU_DEP_4)
	v_add_f64 v[28:29], v[62:63], v[28:29]
	v_mul_f64 v[62:63], v[86:87], s[26:27]
	v_add_f64 v[24:25], v[56:57], v[24:25]
	s_delay_alu instid0(VALU_DEP_2) | instskip(SKIP_1) | instid1(VALU_DEP_2)
	v_fma_f64 v[94:95], v[38:39], s[16:17], v[62:63]
	v_fma_f64 v[56:57], v[38:39], s[16:17], -v[62:63]
	v_add_f64 v[30:31], v[94:95], v[30:31]
	v_mul_f64 v[94:95], v[84:85], s[42:43]
	s_delay_alu instid0(VALU_DEP_3) | instskip(SKIP_1) | instid1(VALU_DEP_3)
	v_add_f64 v[26:27], v[56:57], v[26:27]
	v_mul_f64 v[84:85], v[84:85], s[38:39]
	v_fma_f64 v[96:97], v[32:33], s[0:1], -v[94:95]
	v_fma_f64 v[56:57], v[32:33], s[0:1], v[94:95]
	s_delay_alu instid0(VALU_DEP_2) | instskip(SKIP_1) | instid1(VALU_DEP_3)
	v_add_f64 v[28:29], v[96:97], v[28:29]
	v_mul_f64 v[96:97], v[82:83], s[42:43]
	v_add_f64 v[24:25], v[56:57], v[24:25]
	v_mul_f64 v[82:83], v[82:83], s[38:39]
	s_delay_alu instid0(VALU_DEP_3) | instskip(SKIP_1) | instid1(VALU_DEP_2)
	v_fma_f64 v[100:101], v[34:35], s[0:1], v[96:97]
	v_fma_f64 v[56:57], v[34:35], s[0:1], -v[96:97]
	v_add_f64 v[30:31], v[100:101], v[30:31]
	v_mul_f64 v[100:101], v[80:81], s[34:35]
	s_delay_alu instid0(VALU_DEP_3) | instskip(SKIP_1) | instid1(VALU_DEP_3)
	v_add_f64 v[26:27], v[56:57], v[26:27]
	v_mul_f64 v[80:81], v[80:81], s[20:21]
	v_fma_f64 v[102:103], v[40:41], s[18:19], -v[100:101]
	v_fma_f64 v[56:57], v[40:41], s[18:19], v[100:101]
	v_add_f64 v[100:101], v[74:75], -v[134:135]
	s_delay_alu instid0(VALU_DEP_3) | instskip(SKIP_1) | instid1(VALU_DEP_4)
	v_add_f64 v[28:29], v[102:103], v[28:29]
	v_mul_f64 v[102:103], v[66:67], s[34:35]
	v_add_f64 v[24:25], v[56:57], v[24:25]
	s_delay_alu instid0(VALU_DEP_2) | instskip(SKIP_2) | instid1(VALU_DEP_3)
	v_fma_f64 v[162:163], v[42:43], s[18:19], v[102:103]
	v_fma_f64 v[56:57], v[42:43], s[18:19], -v[102:103]
	v_add_f64 v[102:103], v[4:5], -v[136:137]
	v_add_f64 v[30:31], v[162:163], v[30:31]
	v_mul_f64 v[162:163], v[70:71], s[20:21]
	s_delay_alu instid0(VALU_DEP_4) | instskip(NEXT) | instid1(VALU_DEP_2)
	v_add_f64 v[26:27], v[56:57], v[26:27]
	v_fma_f64 v[164:165], v[48:49], s[12:13], -v[162:163]
	v_fma_f64 v[56:57], v[48:49], s[12:13], v[162:163]
	v_add_f64 v[162:163], v[72:73], -v[132:133]
	s_delay_alu instid0(VALU_DEP_3) | instskip(SKIP_1) | instid1(VALU_DEP_4)
	v_add_f64 v[28:29], v[164:165], v[28:29]
	v_mul_f64 v[164:165], v[68:69], s[20:21]
	v_add_f64 v[24:25], v[56:57], v[24:25]
	v_mul_f64 v[56:57], v[92:93], s[34:35]
	v_mul_f64 v[68:69], v[68:69], s[30:31]
	;; [unrolled: 1-line block ×3, first 2 shown]
	v_fma_f64 v[58:59], v[50:51], s[12:13], -v[164:165]
	v_fma_f64 v[166:167], v[50:51], s[12:13], v[164:165]
	v_add_f64 v[164:165], v[78:79], -v[130:131]
	s_delay_alu instid0(VALU_DEP_3) | instskip(SKIP_4) | instid1(VALU_DEP_4)
	v_add_f64 v[26:27], v[58:59], v[26:27]
	v_fma_f64 v[58:59], v[44:45], s[18:19], -v[56:57]
	v_fma_f64 v[44:45], v[44:45], s[18:19], v[56:57]
	v_add_f64 v[30:31], v[166:167], v[30:31]
	v_add_f64 v[166:167], v[76:77], -v[128:129]
	v_add_f64 v[62:63], v[58:59], v[60:61]
	v_mul_f64 v[58:59], v[90:91], s[34:35]
	v_add_f64 v[44:45], v[44:45], v[52:53]
	s_delay_alu instid0(VALU_DEP_2) | instskip(SKIP_2) | instid1(VALU_DEP_3)
	v_fma_f64 v[60:61], v[46:47], s[18:19], v[58:59]
	v_fma_f64 v[46:47], v[46:47], s[18:19], -v[58:59]
	v_add_f64 v[58:59], v[6:7], v[138:139]
	v_add_f64 v[90:91], v[60:61], v[168:169]
	v_mul_f64 v[60:61], v[88:89], s[22:23]
	s_delay_alu instid0(VALU_DEP_4) | instskip(SKIP_1) | instid1(VALU_DEP_3)
	v_add_f64 v[46:47], v[46:47], v[54:55]
	v_add_f64 v[168:169], v[106:107], -v[126:127]
	v_fma_f64 v[88:89], v[36:37], s[8:9], -v[60:61]
	v_fma_f64 v[36:37], v[36:37], s[8:9], v[60:61]
	v_add_f64 v[60:61], v[76:77], v[128:129]
	s_delay_alu instid0(VALU_DEP_3) | instskip(SKIP_1) | instid1(VALU_DEP_4)
	v_add_f64 v[88:89], v[88:89], v[62:63]
	v_mul_f64 v[62:63], v[86:87], s[22:23]
	v_add_f64 v[36:37], v[36:37], v[44:45]
	v_mul_f64 v[44:45], v[162:163], s[26:27]
	s_delay_alu instid0(VALU_DEP_3) | instskip(SKIP_2) | instid1(VALU_DEP_3)
	v_fma_f64 v[86:87], v[38:39], s[8:9], v[62:63]
	v_fma_f64 v[38:39], v[38:39], s[8:9], -v[62:63]
	v_add_f64 v[62:63], v[74:75], v[134:135]
	v_add_f64 v[86:87], v[86:87], v[90:91]
	v_fma_f64 v[90:91], v[32:33], s[16:17], -v[84:85]
	v_fma_f64 v[32:33], v[32:33], s[16:17], v[84:85]
	v_add_f64 v[38:39], v[38:39], v[46:47]
	v_fma_f64 v[46:47], v[62:63], s[16:17], -v[44:45]
	v_add_f64 v[84:85], v[112:113], v[116:117]
	v_fma_f64 v[192:193], v[62:63], s[12:13], v[190:191]
	v_add_f64 v[88:89], v[90:91], v[88:89]
	v_fma_f64 v[90:91], v[34:35], s[16:17], v[82:83]
	v_fma_f64 v[34:35], v[34:35], s[16:17], -v[82:83]
	v_add_f64 v[32:33], v[32:33], v[36:37]
	v_add_f64 v[82:83], v[106:107], v[126:127]
	s_delay_alu instid0(VALU_DEP_4)
	v_add_f64 v[90:91], v[90:91], v[86:87]
	v_fma_f64 v[86:87], v[40:41], s[12:13], -v[80:81]
	v_fma_f64 v[40:41], v[40:41], s[12:13], v[80:81]
	v_add_f64 v[34:35], v[34:35], v[38:39]
	v_fma_f64 v[38:39], v[50:51], s[14:15], -v[68:69]
	v_add_f64 v[80:81], v[108:109], v[120:121]
	v_add_f64 v[88:89], v[86:87], v[88:89]
	v_mul_f64 v[86:87], v[66:67], s[20:21]
	v_add_f64 v[32:33], v[40:41], v[32:33]
	v_add_f64 v[40:41], v[72:73], v[132:133]
	s_delay_alu instid0(VALU_DEP_3) | instskip(SKIP_2) | instid1(VALU_DEP_3)
	v_fma_f64 v[66:67], v[42:43], s[12:13], v[86:87]
	v_fma_f64 v[42:43], v[42:43], s[12:13], -v[86:87]
	v_add_f64 v[86:87], v[110:111], v[122:123]
	v_add_f64 v[90:91], v[66:67], v[90:91]
	v_mul_f64 v[66:67], v[70:71], s[30:31]
	s_delay_alu instid0(VALU_DEP_4) | instskip(NEXT) | instid1(VALU_DEP_2)
	v_add_f64 v[34:35], v[42:43], v[34:35]
	v_fma_f64 v[70:71], v[48:49], s[14:15], -v[66:67]
	v_fma_f64 v[36:37], v[48:49], s[14:15], v[66:67]
	s_delay_alu instid0(VALU_DEP_3)
	v_add_f64 v[98:99], v[38:39], v[34:35]
	v_mul_f64 v[48:49], v[102:103], s[36:37]
	v_add_f64 v[66:67], v[104:105], v[124:125]
	v_add_f64 v[92:93], v[70:71], v[88:89]
	v_fma_f64 v[70:71], v[50:51], s[14:15], v[68:69]
	v_add_f64 v[96:97], v[36:37], v[32:33]
	v_add_f64 v[36:37], v[4:5], v[136:137]
	s_delay_alu instid0(VALU_DEP_3) | instskip(SKIP_2) | instid1(VALU_DEP_2)
	v_add_f64 v[94:95], v[70:71], v[90:91]
	v_add_f64 v[90:91], v[6:7], -v[138:139]
	v_add_f64 v[70:71], v[78:79], v[130:131]
	v_mul_f64 v[32:33], v[90:91], s[36:37]
	s_delay_alu instid0(VALU_DEP_1) | instskip(NEXT) | instid1(VALU_DEP_1)
	v_fma_f64 v[34:35], v[36:37], s[18:19], v[32:33]
	v_add_f64 v[38:39], v[0:1], v[34:35]
	v_mul_f64 v[34:35], v[100:101], s[26:27]
	s_delay_alu instid0(VALU_DEP_1) | instskip(NEXT) | instid1(VALU_DEP_1)
	v_fma_f64 v[42:43], v[40:41], s[16:17], v[34:35]
	v_add_f64 v[42:43], v[42:43], v[38:39]
	v_fma_f64 v[38:39], v[58:59], s[18:19], -v[48:49]
	s_delay_alu instid0(VALU_DEP_1) | instskip(NEXT) | instid1(VALU_DEP_1)
	v_add_f64 v[38:39], v[2:3], v[38:39]
	v_add_f64 v[46:47], v[46:47], v[38:39]
	v_mul_f64 v[38:39], v[164:165], s[28:29]
	s_delay_alu instid0(VALU_DEP_1) | instskip(NEXT) | instid1(VALU_DEP_1)
	v_fma_f64 v[50:51], v[60:61], s[14:15], v[38:39]
	v_add_f64 v[52:53], v[50:51], v[42:43]
	v_mul_f64 v[50:51], v[166:167], s[28:29]
	s_delay_alu instid0(VALU_DEP_1) | instskip(NEXT) | instid1(VALU_DEP_1)
	v_fma_f64 v[42:43], v[70:71], s[14:15], -v[50:51]
	v_add_f64 v[46:47], v[42:43], v[46:47]
	v_mul_f64 v[42:43], v[168:169], s[20:21]
	s_delay_alu instid0(VALU_DEP_1) | instskip(NEXT) | instid1(VALU_DEP_1)
	v_fma_f64 v[54:55], v[66:67], s[12:13], v[42:43]
	v_add_f64 v[54:55], v[54:55], v[52:53]
	v_mul_f64 v[52:53], v[170:171], s[20:21]
	s_delay_alu instid0(VALU_DEP_1) | instskip(NEXT) | instid1(VALU_DEP_1)
	v_fma_f64 v[56:57], v[82:83], s[12:13], -v[52:53]
	;; [unrolled: 8-line block ×3, first 2 shown]
	v_add_f64 v[176:177], v[54:55], v[68:69]
	v_mul_f64 v[54:55], v[178:179], s[24:25]
	s_delay_alu instid0(VALU_DEP_1) | instskip(NEXT) | instid1(VALU_DEP_1)
	v_fma_f64 v[68:69], v[84:85], s[0:1], v[54:55]
	v_add_f64 v[184:185], v[68:69], v[88:89]
	v_add_f64 v[88:89], v[114:115], v[118:119]
	v_mul_f64 v[68:69], v[180:181], s[24:25]
	s_delay_alu instid0(VALU_DEP_1) | instskip(NEXT) | instid1(VALU_DEP_1)
	v_fma_f64 v[182:183], v[88:89], s[0:1], -v[68:69]
	v_add_f64 v[186:187], v[182:183], v[176:177]
	v_mul_f64 v[176:177], v[90:91], s[26:27]
	scratch_store_b128 off, v[184:187], off offset:8 ; 16-byte Folded Spill
	v_fma_f64 v[182:183], v[36:37], s[16:17], -v[176:177]
	v_mul_f64 v[184:185], v[100:101], s[20:21]
	v_fma_f64 v[176:177], v[36:37], s[16:17], v[176:177]
	s_delay_alu instid0(VALU_DEP_3) | instskip(NEXT) | instid1(VALU_DEP_3)
	v_add_f64 v[182:183], v[0:1], v[182:183]
	v_fma_f64 v[186:187], v[40:41], s[12:13], -v[184:185]
	s_delay_alu instid0(VALU_DEP_3) | instskip(SKIP_1) | instid1(VALU_DEP_3)
	v_add_f64 v[176:177], v[0:1], v[176:177]
	v_fma_f64 v[184:185], v[40:41], s[12:13], v[184:185]
	v_add_f64 v[182:183], v[186:187], v[182:183]
	v_mul_f64 v[186:187], v[102:103], s[26:27]
	s_delay_alu instid0(VALU_DEP_3) | instskip(NEXT) | instid1(VALU_DEP_2)
	v_add_f64 v[176:177], v[184:185], v[176:177]
	v_fma_f64 v[188:189], v[58:59], s[16:17], v[186:187]
	v_fma_f64 v[184:185], v[58:59], s[16:17], -v[186:187]
	v_fma_f64 v[186:187], v[62:63], s[12:13], -v[190:191]
	v_mul_f64 v[190:191], v[162:163], s[24:25]
	s_delay_alu instid0(VALU_DEP_4) | instskip(NEXT) | instid1(VALU_DEP_4)
	v_add_f64 v[188:189], v[2:3], v[188:189]
	v_add_f64 v[184:185], v[2:3], v[184:185]
	s_delay_alu instid0(VALU_DEP_2) | instskip(SKIP_1) | instid1(VALU_DEP_3)
	v_add_f64 v[188:189], v[192:193], v[188:189]
	v_mul_f64 v[192:193], v[164:165], s[24:25]
	v_add_f64 v[184:185], v[186:187], v[184:185]
	s_delay_alu instid0(VALU_DEP_2) | instskip(SKIP_2) | instid1(VALU_DEP_3)
	v_fma_f64 v[194:195], v[60:61], s[0:1], -v[192:193]
	v_fma_f64 v[186:187], v[60:61], s[0:1], v[192:193]
	v_fma_f64 v[192:193], v[62:63], s[0:1], v[190:191]
	v_add_f64 v[182:183], v[194:195], v[182:183]
	v_mul_f64 v[194:195], v[166:167], s[24:25]
	s_delay_alu instid0(VALU_DEP_4) | instskip(NEXT) | instid1(VALU_DEP_2)
	v_add_f64 v[176:177], v[186:187], v[176:177]
	v_fma_f64 v[196:197], v[70:71], s[0:1], v[194:195]
	v_fma_f64 v[186:187], v[70:71], s[0:1], -v[194:195]
	s_delay_alu instid0(VALU_DEP_2) | instskip(SKIP_1) | instid1(VALU_DEP_3)
	v_add_f64 v[188:189], v[196:197], v[188:189]
	v_mul_f64 v[196:197], v[168:169], s[40:41]
	v_add_f64 v[184:185], v[186:187], v[184:185]
	s_delay_alu instid0(VALU_DEP_2) | instskip(SKIP_1) | instid1(VALU_DEP_2)
	v_fma_f64 v[198:199], v[66:67], s[8:9], -v[196:197]
	v_fma_f64 v[186:187], v[66:67], s[8:9], v[196:197]
	v_add_f64 v[182:183], v[198:199], v[182:183]
	v_mul_f64 v[198:199], v[170:171], s[40:41]
	s_delay_alu instid0(VALU_DEP_3) | instskip(NEXT) | instid1(VALU_DEP_2)
	v_add_f64 v[176:177], v[186:187], v[176:177]
	v_fma_f64 v[200:201], v[82:83], s[8:9], v[198:199]
	v_fma_f64 v[186:187], v[82:83], s[8:9], -v[198:199]
	s_delay_alu instid0(VALU_DEP_2) | instskip(SKIP_1) | instid1(VALU_DEP_3)
	v_add_f64 v[188:189], v[200:201], v[188:189]
	v_mul_f64 v[200:201], v[172:173], s[30:31]
	v_add_f64 v[184:185], v[186:187], v[184:185]
	s_delay_alu instid0(VALU_DEP_2) | instskip(SKIP_1) | instid1(VALU_DEP_2)
	v_fma_f64 v[202:203], v[80:81], s[14:15], -v[200:201]
	v_fma_f64 v[186:187], v[80:81], s[14:15], v[200:201]
	v_add_f64 v[182:183], v[202:203], v[182:183]
	v_mul_f64 v[202:203], v[174:175], s[30:31]
	s_delay_alu instid0(VALU_DEP_3) | instskip(NEXT) | instid1(VALU_DEP_2)
	v_add_f64 v[176:177], v[186:187], v[176:177]
	v_fma_f64 v[204:205], v[86:87], s[14:15], v[202:203]
	v_fma_f64 v[186:187], v[86:87], s[14:15], -v[202:203]
	s_delay_alu instid0(VALU_DEP_2) | instskip(SKIP_1) | instid1(VALU_DEP_3)
	v_add_f64 v[188:189], v[204:205], v[188:189]
	v_mul_f64 v[204:205], v[178:179], s[34:35]
	v_add_f64 v[184:185], v[186:187], v[184:185]
	s_delay_alu instid0(VALU_DEP_2) | instskip(SKIP_1) | instid1(VALU_DEP_2)
	v_fma_f64 v[206:207], v[84:85], s[18:19], -v[204:205]
	v_fma_f64 v[186:187], v[84:85], s[18:19], v[204:205]
	v_add_f64 v[208:209], v[206:207], v[182:183]
	v_mul_f64 v[182:183], v[180:181], s[34:35]
	s_delay_alu instid0(VALU_DEP_3) | instskip(SKIP_1) | instid1(VALU_DEP_3)
	v_add_f64 v[186:187], v[186:187], v[176:177]
	v_mul_f64 v[176:177], v[90:91], s[28:29]
	v_fma_f64 v[206:207], v[88:89], s[18:19], v[182:183]
	v_fma_f64 v[182:183], v[88:89], s[18:19], -v[182:183]
	s_delay_alu instid0(VALU_DEP_2) | instskip(NEXT) | instid1(VALU_DEP_2)
	v_add_f64 v[210:211], v[206:207], v[188:189]
	v_add_f64 v[188:189], v[182:183], v[184:185]
	v_fma_f64 v[182:183], v[36:37], s[14:15], -v[176:177]
	v_mul_f64 v[184:185], v[100:101], s[24:25]
	v_fma_f64 v[176:177], v[36:37], s[14:15], v[176:177]
	s_clause 0x1
	scratch_store_b128 off, v[208:211], off offset:56
	scratch_store_b128 off, v[186:189], off offset:24
	v_add_f64 v[182:183], v[0:1], v[182:183]
	v_fma_f64 v[186:187], v[40:41], s[0:1], -v[184:185]
	v_add_f64 v[176:177], v[0:1], v[176:177]
	v_fma_f64 v[184:185], v[40:41], s[0:1], v[184:185]
	s_delay_alu instid0(VALU_DEP_3) | instskip(SKIP_1) | instid1(VALU_DEP_3)
	v_add_f64 v[182:183], v[186:187], v[182:183]
	v_mul_f64 v[186:187], v[102:103], s[28:29]
	v_add_f64 v[176:177], v[184:185], v[176:177]
	s_delay_alu instid0(VALU_DEP_2) | instskip(SKIP_3) | instid1(VALU_DEP_4)
	v_fma_f64 v[188:189], v[58:59], s[14:15], v[186:187]
	v_fma_f64 v[184:185], v[58:59], s[14:15], -v[186:187]
	v_fma_f64 v[186:187], v[62:63], s[0:1], -v[190:191]
	v_mul_f64 v[190:191], v[162:163], s[40:41]
	v_add_f64 v[188:189], v[2:3], v[188:189]
	s_delay_alu instid0(VALU_DEP_4) | instskip(NEXT) | instid1(VALU_DEP_2)
	v_add_f64 v[184:185], v[2:3], v[184:185]
	v_add_f64 v[188:189], v[192:193], v[188:189]
	v_mul_f64 v[192:193], v[164:165], s[44:45]
	s_delay_alu instid0(VALU_DEP_3) | instskip(NEXT) | instid1(VALU_DEP_2)
	v_add_f64 v[184:185], v[186:187], v[184:185]
	v_fma_f64 v[194:195], v[60:61], s[12:13], -v[192:193]
	v_fma_f64 v[186:187], v[60:61], s[12:13], v[192:193]
	v_fma_f64 v[192:193], v[62:63], s[8:9], v[190:191]
	s_delay_alu instid0(VALU_DEP_3) | instskip(SKIP_1) | instid1(VALU_DEP_4)
	v_add_f64 v[182:183], v[194:195], v[182:183]
	v_mul_f64 v[194:195], v[166:167], s[44:45]
	v_add_f64 v[176:177], v[186:187], v[176:177]
	s_delay_alu instid0(VALU_DEP_2) | instskip(SKIP_1) | instid1(VALU_DEP_2)
	v_fma_f64 v[196:197], v[70:71], s[12:13], v[194:195]
	v_fma_f64 v[186:187], v[70:71], s[12:13], -v[194:195]
	v_add_f64 v[188:189], v[196:197], v[188:189]
	v_mul_f64 v[196:197], v[168:169], s[34:35]
	s_delay_alu instid0(VALU_DEP_3) | instskip(NEXT) | instid1(VALU_DEP_2)
	v_add_f64 v[184:185], v[186:187], v[184:185]
	v_fma_f64 v[198:199], v[66:67], s[18:19], -v[196:197]
	v_fma_f64 v[186:187], v[66:67], s[18:19], v[196:197]
	s_delay_alu instid0(VALU_DEP_2) | instskip(SKIP_1) | instid1(VALU_DEP_3)
	v_add_f64 v[182:183], v[198:199], v[182:183]
	v_mul_f64 v[198:199], v[170:171], s[34:35]
	v_add_f64 v[176:177], v[186:187], v[176:177]
	s_delay_alu instid0(VALU_DEP_2) | instskip(SKIP_1) | instid1(VALU_DEP_2)
	v_fma_f64 v[200:201], v[82:83], s[18:19], v[198:199]
	v_fma_f64 v[186:187], v[82:83], s[18:19], -v[198:199]
	v_add_f64 v[188:189], v[200:201], v[188:189]
	v_mul_f64 v[200:201], v[172:173], s[26:27]
	s_delay_alu instid0(VALU_DEP_3) | instskip(NEXT) | instid1(VALU_DEP_2)
	v_add_f64 v[184:185], v[186:187], v[184:185]
	v_fma_f64 v[202:203], v[80:81], s[16:17], -v[200:201]
	v_fma_f64 v[186:187], v[80:81], s[16:17], v[200:201]
	s_delay_alu instid0(VALU_DEP_2) | instskip(SKIP_1) | instid1(VALU_DEP_3)
	;; [unrolled: 13-line block ×3, first 2 shown]
	v_add_f64 v[208:209], v[206:207], v[182:183]
	v_mul_f64 v[182:183], v[180:181], s[22:23]
	v_add_f64 v[186:187], v[186:187], v[176:177]
	v_mul_f64 v[176:177], v[90:91], s[20:21]
	s_delay_alu instid0(VALU_DEP_3) | instskip(SKIP_1) | instid1(VALU_DEP_2)
	v_fma_f64 v[206:207], v[88:89], s[8:9], v[182:183]
	v_fma_f64 v[182:183], v[88:89], s[8:9], -v[182:183]
	v_add_f64 v[210:211], v[206:207], v[188:189]
	s_delay_alu instid0(VALU_DEP_2)
	v_add_f64 v[188:189], v[182:183], v[184:185]
	v_fma_f64 v[182:183], v[36:37], s[12:13], -v[176:177]
	v_mul_f64 v[184:185], v[100:101], s[40:41]
	v_fma_f64 v[176:177], v[36:37], s[12:13], v[176:177]
	s_clause 0x1
	scratch_store_b128 off, v[208:211], off offset:72
	scratch_store_b128 off, v[186:189], off offset:40
	v_add_f64 v[182:183], v[0:1], v[182:183]
	v_fma_f64 v[186:187], v[40:41], s[8:9], -v[184:185]
	v_add_f64 v[176:177], v[0:1], v[176:177]
	v_fma_f64 v[184:185], v[40:41], s[8:9], v[184:185]
	s_delay_alu instid0(VALU_DEP_3) | instskip(SKIP_1) | instid1(VALU_DEP_3)
	v_add_f64 v[182:183], v[186:187], v[182:183]
	v_mul_f64 v[186:187], v[102:103], s[20:21]
	v_add_f64 v[176:177], v[184:185], v[176:177]
	s_delay_alu instid0(VALU_DEP_2)
	v_fma_f64 v[188:189], v[58:59], s[12:13], v[186:187]
	v_fma_f64 v[184:185], v[58:59], s[12:13], -v[186:187]
	v_fma_f64 v[186:187], v[62:63], s[8:9], -v[190:191]
	v_mul_f64 v[190:191], v[162:163], s[30:31]
	v_mul_f64 v[162:163], v[162:163], s[34:35]
	v_add_f64 v[188:189], v[2:3], v[188:189]
	v_add_f64 v[184:185], v[2:3], v[184:185]
	s_delay_alu instid0(VALU_DEP_2) | instskip(SKIP_1) | instid1(VALU_DEP_3)
	v_add_f64 v[188:189], v[192:193], v[188:189]
	v_mul_f64 v[192:193], v[164:165], s[34:35]
	v_add_f64 v[184:185], v[186:187], v[184:185]
	s_delay_alu instid0(VALU_DEP_2) | instskip(SKIP_2) | instid1(VALU_DEP_3)
	v_fma_f64 v[194:195], v[60:61], s[18:19], -v[192:193]
	v_fma_f64 v[186:187], v[60:61], s[18:19], v[192:193]
	v_fma_f64 v[192:193], v[62:63], s[14:15], v[190:191]
	v_add_f64 v[182:183], v[194:195], v[182:183]
	v_mul_f64 v[194:195], v[166:167], s[34:35]
	s_delay_alu instid0(VALU_DEP_4) | instskip(NEXT) | instid1(VALU_DEP_2)
	v_add_f64 v[176:177], v[186:187], v[176:177]
	v_fma_f64 v[196:197], v[70:71], s[18:19], v[194:195]
	v_fma_f64 v[186:187], v[70:71], s[18:19], -v[194:195]
	s_delay_alu instid0(VALU_DEP_2) | instskip(SKIP_1) | instid1(VALU_DEP_3)
	v_add_f64 v[188:189], v[196:197], v[188:189]
	v_mul_f64 v[196:197], v[168:169], s[28:29]
	v_add_f64 v[184:185], v[186:187], v[184:185]
	s_delay_alu instid0(VALU_DEP_2) | instskip(SKIP_1) | instid1(VALU_DEP_2)
	v_fma_f64 v[198:199], v[66:67], s[14:15], -v[196:197]
	v_fma_f64 v[186:187], v[66:67], s[14:15], v[196:197]
	v_add_f64 v[182:183], v[198:199], v[182:183]
	v_mul_f64 v[198:199], v[170:171], s[28:29]
	s_delay_alu instid0(VALU_DEP_3) | instskip(NEXT) | instid1(VALU_DEP_2)
	v_add_f64 v[176:177], v[186:187], v[176:177]
	v_fma_f64 v[200:201], v[82:83], s[14:15], v[198:199]
	v_fma_f64 v[186:187], v[82:83], s[14:15], -v[198:199]
	s_delay_alu instid0(VALU_DEP_2) | instskip(SKIP_1) | instid1(VALU_DEP_3)
	v_add_f64 v[188:189], v[200:201], v[188:189]
	v_mul_f64 v[200:201], v[172:173], s[42:43]
	v_add_f64 v[184:185], v[186:187], v[184:185]
	s_delay_alu instid0(VALU_DEP_2) | instskip(SKIP_1) | instid1(VALU_DEP_2)
	v_fma_f64 v[202:203], v[80:81], s[0:1], -v[200:201]
	v_fma_f64 v[186:187], v[80:81], s[0:1], v[200:201]
	v_add_f64 v[182:183], v[202:203], v[182:183]
	v_mul_f64 v[202:203], v[174:175], s[42:43]
	s_delay_alu instid0(VALU_DEP_3) | instskip(NEXT) | instid1(VALU_DEP_2)
	v_add_f64 v[176:177], v[186:187], v[176:177]
	v_fma_f64 v[204:205], v[86:87], s[0:1], v[202:203]
	v_fma_f64 v[186:187], v[86:87], s[0:1], -v[202:203]
	s_delay_alu instid0(VALU_DEP_2) | instskip(SKIP_1) | instid1(VALU_DEP_3)
	v_add_f64 v[188:189], v[204:205], v[188:189]
	v_mul_f64 v[204:205], v[178:179], s[38:39]
	v_add_f64 v[184:185], v[186:187], v[184:185]
	s_delay_alu instid0(VALU_DEP_2) | instskip(SKIP_1) | instid1(VALU_DEP_2)
	v_fma_f64 v[206:207], v[84:85], s[16:17], -v[204:205]
	v_fma_f64 v[186:187], v[84:85], s[16:17], v[204:205]
	v_add_f64 v[208:209], v[206:207], v[182:183]
	v_mul_f64 v[182:183], v[180:181], s[38:39]
	s_delay_alu instid0(VALU_DEP_3) | instskip(SKIP_2) | instid1(VALU_DEP_4)
	v_add_f64 v[186:187], v[186:187], v[176:177]
	v_mul_f64 v[176:177], v[90:91], s[22:23]
	v_mul_f64 v[90:91], v[90:91], s[24:25]
	v_fma_f64 v[206:207], v[88:89], s[16:17], v[182:183]
	v_fma_f64 v[182:183], v[88:89], s[16:17], -v[182:183]
	s_delay_alu instid0(VALU_DEP_2) | instskip(NEXT) | instid1(VALU_DEP_2)
	v_add_f64 v[210:211], v[206:207], v[188:189]
	v_add_f64 v[188:189], v[182:183], v[184:185]
	v_fma_f64 v[182:183], v[36:37], s[8:9], -v[176:177]
	v_mul_f64 v[184:185], v[100:101], s[30:31]
	v_fma_f64 v[176:177], v[36:37], s[8:9], v[176:177]
	v_mul_f64 v[100:101], v[100:101], s[34:35]
	s_clause 0x1
	scratch_store_b128 off, v[208:211], off offset:88
	scratch_store_b128 off, v[186:189], off offset:104
	v_add_f64 v[182:183], v[0:1], v[182:183]
	v_fma_f64 v[186:187], v[40:41], s[14:15], -v[184:185]
	v_add_f64 v[176:177], v[0:1], v[176:177]
	v_fma_f64 v[184:185], v[40:41], s[14:15], v[184:185]
	s_delay_alu instid0(VALU_DEP_3) | instskip(SKIP_1) | instid1(VALU_DEP_3)
	v_add_f64 v[182:183], v[186:187], v[182:183]
	v_mul_f64 v[186:187], v[102:103], s[22:23]
	v_add_f64 v[176:177], v[184:185], v[176:177]
	v_mul_f64 v[102:103], v[102:103], s[24:25]
	s_delay_alu instid0(VALU_DEP_3) | instskip(SKIP_2) | instid1(VALU_DEP_3)
	v_fma_f64 v[188:189], v[58:59], s[8:9], v[186:187]
	v_fma_f64 v[184:185], v[58:59], s[8:9], -v[186:187]
	v_fma_f64 v[186:187], v[62:63], s[14:15], -v[190:191]
	v_add_f64 v[188:189], v[2:3], v[188:189]
	s_delay_alu instid0(VALU_DEP_3) | instskip(NEXT) | instid1(VALU_DEP_2)
	v_add_f64 v[184:185], v[2:3], v[184:185]
	v_add_f64 v[188:189], v[192:193], v[188:189]
	v_mul_f64 v[192:193], v[164:165], s[26:27]
	s_delay_alu instid0(VALU_DEP_3) | instskip(SKIP_1) | instid1(VALU_DEP_3)
	v_add_f64 v[184:185], v[186:187], v[184:185]
	v_mul_f64 v[164:165], v[164:165], s[22:23]
	v_fma_f64 v[194:195], v[60:61], s[16:17], -v[192:193]
	v_fma_f64 v[186:187], v[60:61], s[16:17], v[192:193]
	s_delay_alu instid0(VALU_DEP_2) | instskip(SKIP_1) | instid1(VALU_DEP_3)
	v_add_f64 v[182:183], v[194:195], v[182:183]
	v_mul_f64 v[194:195], v[166:167], s[26:27]
	v_add_f64 v[176:177], v[186:187], v[176:177]
	v_mul_f64 v[166:167], v[166:167], s[22:23]
	s_delay_alu instid0(VALU_DEP_3) | instskip(SKIP_1) | instid1(VALU_DEP_2)
	v_fma_f64 v[196:197], v[70:71], s[16:17], v[194:195]
	v_fma_f64 v[186:187], v[70:71], s[16:17], -v[194:195]
	v_add_f64 v[188:189], v[196:197], v[188:189]
	v_mul_f64 v[196:197], v[168:169], s[42:43]
	s_delay_alu instid0(VALU_DEP_3) | instskip(SKIP_1) | instid1(VALU_DEP_3)
	v_add_f64 v[184:185], v[186:187], v[184:185]
	v_mul_f64 v[168:169], v[168:169], s[38:39]
	v_fma_f64 v[198:199], v[66:67], s[0:1], -v[196:197]
	v_fma_f64 v[186:187], v[66:67], s[0:1], v[196:197]
	s_delay_alu instid0(VALU_DEP_2) | instskip(SKIP_1) | instid1(VALU_DEP_3)
	v_add_f64 v[182:183], v[198:199], v[182:183]
	v_mul_f64 v[198:199], v[170:171], s[42:43]
	v_add_f64 v[176:177], v[186:187], v[176:177]
	v_mul_f64 v[170:171], v[170:171], s[38:39]
	s_delay_alu instid0(VALU_DEP_3) | instskip(SKIP_1) | instid1(VALU_DEP_2)
	v_fma_f64 v[200:201], v[82:83], s[0:1], v[198:199]
	v_fma_f64 v[186:187], v[82:83], s[0:1], -v[198:199]
	v_add_f64 v[188:189], v[200:201], v[188:189]
	v_mul_f64 v[200:201], v[172:173], s[34:35]
	s_delay_alu instid0(VALU_DEP_3) | instskip(SKIP_1) | instid1(VALU_DEP_3)
	v_add_f64 v[184:185], v[186:187], v[184:185]
	v_mul_f64 v[172:173], v[172:173], s[20:21]
	v_fma_f64 v[202:203], v[80:81], s[18:19], -v[200:201]
	v_fma_f64 v[186:187], v[80:81], s[18:19], v[200:201]
	s_delay_alu instid0(VALU_DEP_2) | instskip(SKIP_1) | instid1(VALU_DEP_3)
	v_add_f64 v[182:183], v[202:203], v[182:183]
	v_mul_f64 v[202:203], v[174:175], s[34:35]
	v_add_f64 v[176:177], v[186:187], v[176:177]
	v_mul_f64 v[174:175], v[174:175], s[20:21]
	s_delay_alu instid0(VALU_DEP_3) | instskip(SKIP_1) | instid1(VALU_DEP_2)
	v_fma_f64 v[204:205], v[86:87], s[18:19], v[202:203]
	v_fma_f64 v[186:187], v[86:87], s[18:19], -v[202:203]
	v_add_f64 v[188:189], v[204:205], v[188:189]
	v_mul_f64 v[204:205], v[178:179], s[20:21]
	s_delay_alu instid0(VALU_DEP_3) | instskip(SKIP_1) | instid1(VALU_DEP_3)
	v_add_f64 v[184:185], v[186:187], v[184:185]
	v_mul_f64 v[178:179], v[178:179], s[30:31]
	v_fma_f64 v[206:207], v[84:85], s[12:13], -v[204:205]
	v_fma_f64 v[186:187], v[84:85], s[12:13], v[204:205]
	s_delay_alu instid0(VALU_DEP_2) | instskip(SKIP_1) | instid1(VALU_DEP_3)
	v_add_f64 v[208:209], v[206:207], v[182:183]
	v_mul_f64 v[182:183], v[180:181], s[20:21]
	v_add_f64 v[186:187], v[186:187], v[176:177]
	v_fma_f64 v[176:177], v[36:37], s[0:1], -v[90:91]
	v_fma_f64 v[90:91], v[36:37], s[0:1], v[90:91]
	v_mul_f64 v[180:181], v[180:181], s[30:31]
	v_fma_f64 v[206:207], v[88:89], s[12:13], v[182:183]
	v_fma_f64 v[182:183], v[88:89], s[12:13], -v[182:183]
	v_add_f64 v[176:177], v[0:1], v[176:177]
	v_add_f64 v[90:91], v[0:1], v[90:91]
	s_delay_alu instid0(VALU_DEP_4) | instskip(NEXT) | instid1(VALU_DEP_4)
	v_add_f64 v[210:211], v[206:207], v[188:189]
	v_add_f64 v[188:189], v[182:183], v[184:185]
	v_fma_f64 v[182:183], v[40:41], s[18:19], -v[100:101]
	v_fma_f64 v[100:101], v[40:41], s[18:19], v[100:101]
	v_fma_f64 v[184:185], v[62:63], s[18:19], v[162:163]
	s_clause 0x1
	scratch_store_b128 off, v[208:211], off offset:120
	scratch_store_b128 off, v[186:189], off offset:136
	v_add_f64 v[176:177], v[182:183], v[176:177]
	v_fma_f64 v[182:183], v[58:59], s[0:1], v[102:103]
	v_add_f64 v[90:91], v[100:101], v[90:91]
	v_fma_f64 v[100:101], v[58:59], s[0:1], -v[102:103]
	v_fma_f64 v[102:103], v[62:63], s[18:19], -v[162:163]
	;; [unrolled: 1-line block ×3, first 2 shown]
	v_add_f64 v[182:183], v[2:3], v[182:183]
	s_delay_alu instid0(VALU_DEP_4) | instskip(NEXT) | instid1(VALU_DEP_2)
	v_add_f64 v[100:101], v[2:3], v[100:101]
	v_add_f64 v[182:183], v[184:185], v[182:183]
	v_fma_f64 v[184:185], v[60:61], s[8:9], -v[164:165]
	s_delay_alu instid0(VALU_DEP_3) | instskip(SKIP_1) | instid1(VALU_DEP_3)
	v_add_f64 v[100:101], v[102:103], v[100:101]
	v_fma_f64 v[102:103], v[60:61], s[8:9], v[164:165]
	v_add_f64 v[176:177], v[184:185], v[176:177]
	v_fma_f64 v[184:185], v[70:71], s[8:9], v[166:167]
	s_delay_alu instid0(VALU_DEP_3) | instskip(SKIP_1) | instid1(VALU_DEP_3)
	v_add_f64 v[90:91], v[102:103], v[90:91]
	v_fma_f64 v[102:103], v[70:71], s[8:9], -v[166:167]
	v_add_f64 v[182:183], v[184:185], v[182:183]
	v_fma_f64 v[184:185], v[66:67], s[16:17], -v[168:169]
	s_delay_alu instid0(VALU_DEP_3) | instskip(SKIP_1) | instid1(VALU_DEP_3)
	v_add_f64 v[100:101], v[102:103], v[100:101]
	v_fma_f64 v[102:103], v[66:67], s[16:17], v[168:169]
	v_add_f64 v[176:177], v[184:185], v[176:177]
	v_fma_f64 v[184:185], v[82:83], s[16:17], v[170:171]
	s_delay_alu instid0(VALU_DEP_3) | instskip(SKIP_1) | instid1(VALU_DEP_3)
	v_add_f64 v[90:91], v[102:103], v[90:91]
	v_fma_f64 v[102:103], v[82:83], s[16:17], -v[170:171]
	;; [unrolled: 10-line block ×3, first 2 shown]
	v_add_f64 v[182:183], v[184:185], v[182:183]
	v_fma_f64 v[184:185], v[84:85], s[14:15], -v[178:179]
	s_delay_alu instid0(VALU_DEP_3) | instskip(SKIP_1) | instid1(VALU_DEP_3)
	v_add_f64 v[100:101], v[102:103], v[100:101]
	v_fma_f64 v[102:103], v[84:85], s[14:15], v[178:179]
	v_add_f64 v[184:185], v[184:185], v[176:177]
	v_fma_f64 v[176:177], v[88:89], s[14:15], v[180:181]
	s_delay_alu instid0(VALU_DEP_3) | instskip(SKIP_2) | instid1(VALU_DEP_1)
	v_add_f64 v[164:165], v[102:103], v[90:91]
	v_add_f64 v[166:167], v[162:163], v[100:101]
	v_mul_lo_u16 v90, v161, 13
	v_and_b32_e32 v90, 0xffff, v90
	s_delay_alu instid0(VALU_DEP_1)
	v_lshlrev_b32_e32 v162, 4, v90
	v_add_f64 v[186:187], v[176:177], v[182:183]
	s_clause 0x1
	scratch_store_b128 off, v[164:167], off offset:168
	scratch_store_b128 off, v[184:187], off offset:152
	s_waitcnt_vscnt null, 0x0
	s_barrier
	buffer_gl0_inv
	ds_store_b128 v162, v[140:143]
	ds_store_b128 v162, v[144:147] offset:16
	ds_store_b128 v162, v[152:155] offset:32
	;; [unrolled: 1-line block ×12, first 2 shown]
	v_add_co_u32 v8, s20, 0x75, v161
	s_delay_alu instid0(VALU_DEP_1) | instskip(NEXT) | instid1(VALU_DEP_2)
	v_add_co_ci_u32_e64 v9, null, 0, 0, s20
	v_mul_u32_u24_e32 v9, 13, v8
	scratch_store_b32 off, v9, off offset:856 ; 4-byte Folded Spill
	s_and_saveexec_b32 s20, vcc_lo
	s_cbranch_execz .LBB0_7
; %bb.6:
	v_mul_f64 v[9:10], v[58:59], s[18:19]
	v_mul_f64 v[11:12], v[36:37], s[18:19]
	;; [unrolled: 1-line block ×4, first 2 shown]
	v_add_f64 v[6:7], v[2:3], v[6:7]
	v_add_f64 v[4:5], v[0:1], v[4:5]
	v_mul_f64 v[17:18], v[60:61], s[14:15]
	v_mul_f64 v[19:20], v[70:71], s[14:15]
	v_add_f64 v[9:10], v[48:49], v[9:10]
	v_add_f64 v[11:12], v[11:12], -v[32:33]
	v_add_f64 v[13:14], v[44:45], v[13:14]
	v_add_f64 v[15:16], v[15:16], -v[34:35]
	v_add_f64 v[6:7], v[6:7], v[74:75]
	v_add_f64 v[4:5], v[4:5], v[72:73]
	v_add_f64 v[17:18], v[17:18], -v[38:39]
	v_add_f64 v[19:20], v[50:51], v[19:20]
	v_add_f64 v[2:3], v[2:3], v[9:10]
	;; [unrolled: 1-line block ×3, first 2 shown]
	v_mul_f64 v[9:10], v[66:67], s[12:13]
	v_mul_f64 v[11:12], v[82:83], s[12:13]
	v_add_f64 v[6:7], v[6:7], v[78:79]
	v_add_f64 v[4:5], v[4:5], v[76:77]
	;; [unrolled: 1-line block ×4, first 2 shown]
	v_mul_f64 v[13:14], v[80:81], s[8:9]
	v_mul_f64 v[15:16], v[86:87], s[8:9]
	v_add_f64 v[11:12], v[52:53], v[11:12]
	v_add_f64 v[9:10], v[9:10], -v[42:43]
	v_add_f64 v[6:7], v[6:7], v[106:107]
	v_add_f64 v[4:5], v[4:5], v[104:105]
	;; [unrolled: 1-line block ×4, first 2 shown]
	v_mul_f64 v[17:18], v[84:85], s[0:1]
	v_mul_f64 v[19:20], v[88:89], s[0:1]
	v_add_f64 v[15:16], v[56:57], v[15:16]
	v_add_f64 v[13:14], v[13:14], -v[46:47]
	v_add_f64 v[6:7], v[6:7], v[110:111]
	v_add_f64 v[4:5], v[4:5], v[108:109]
	;; [unrolled: 1-line block ×4, first 2 shown]
	v_add_f64 v[11:12], v[17:18], -v[54:55]
	v_add_f64 v[9:10], v[68:69], v[19:20]
	v_add_f64 v[6:7], v[6:7], v[114:115]
	;; [unrolled: 1-line block ×5, first 2 shown]
	s_delay_alu instid0(VALU_DEP_4) | instskip(NEXT) | instid1(VALU_DEP_4)
	v_add_f64 v[6:7], v[6:7], v[118:119]
	v_add_f64 v[4:5], v[4:5], v[116:117]
	s_delay_alu instid0(VALU_DEP_4) | instskip(NEXT) | instid1(VALU_DEP_4)
	v_add_f64 v[2:3], v[9:10], v[2:3]
	v_add_f64 v[0:1], v[11:12], v[0:1]
	scratch_load_b128 v[10:13], off, off offset:56 ; 16-byte Folded Reload
	v_mul_u32_u24_e32 v9, 13, v8
	v_add_f64 v[6:7], v[6:7], v[122:123]
	v_add_f64 v[4:5], v[4:5], v[120:121]
	s_delay_alu instid0(VALU_DEP_3) | instskip(NEXT) | instid1(VALU_DEP_3)
	v_lshlrev_b32_e32 v9, 4, v9
	v_add_f64 v[6:7], v[6:7], v[126:127]
	s_delay_alu instid0(VALU_DEP_3) | instskip(NEXT) | instid1(VALU_DEP_2)
	v_add_f64 v[4:5], v[4:5], v[124:125]
	v_add_f64 v[6:7], v[6:7], v[130:131]
	s_delay_alu instid0(VALU_DEP_2) | instskip(NEXT) | instid1(VALU_DEP_2)
	v_add_f64 v[4:5], v[4:5], v[128:129]
	v_add_f64 v[6:7], v[6:7], v[134:135]
	s_delay_alu instid0(VALU_DEP_2) | instskip(NEXT) | instid1(VALU_DEP_2)
	v_add_f64 v[4:5], v[4:5], v[132:133]
	v_add_f64 v[6:7], v[6:7], v[138:139]
	s_delay_alu instid0(VALU_DEP_2)
	v_add_f64 v[4:5], v[4:5], v[136:137]
	s_waitcnt vmcnt(0)
	ds_store_b128 v9, v[10:13] offset:32
	scratch_load_b128 v[10:13], off, off offset:72 ; 16-byte Folded Reload
	s_waitcnt vmcnt(0)
	ds_store_b128 v9, v[10:13] offset:48
	scratch_load_b128 v[10:13], off, off offset:88 ; 16-byte Folded Reload
	;; [unrolled: 3-line block ×9, first 2 shown]
	s_waitcnt vmcnt(0)
	ds_store_b128 v9, v[10:13] offset:176
	ds_store_b128 v9, v[4:7]
	ds_store_b128 v9, v[0:3] offset:16
	scratch_load_b128 v[0:3], off, off offset:8 ; 16-byte Folded Reload
	s_waitcnt vmcnt(0)
	ds_store_b128 v9, v[0:3] offset:192
.LBB0_7:
	s_or_b32 exec_lo, exec_lo, s20
	v_and_b32_e32 v0, 0xff, v161
	s_waitcnt lgkmcnt(0)
	s_waitcnt_vscnt null, 0x0
	s_barrier
	buffer_gl0_inv
	v_and_b32_e32 v5, 0xff, v8
	v_mul_lo_u16 v1, 0x4f, v0
	v_add_co_u32 v6, null, 0xea, v161
	s_mov_b32 s0, 0xe8584caa
	s_mov_b32 s1, 0x3febb67a
	s_delay_alu instid0(VALU_DEP_2)
	v_lshrrev_b16 v1, 10, v1
	s_mov_b32 s9, 0xbfebb67a
	s_mov_b32 s8, s0
	v_mul_lo_u16 v0, 0xa5, v0
	s_mov_b32 s13, 0xbfee6f0e
	v_mul_lo_u16 v2, v1, 13
	v_and_b32_e32 v1, 0xffff, v1
	s_mov_b32 s14, 0x372fe950
	v_lshrrev_b16 v0, 8, v0
	s_mov_b32 s15, 0x3fd3c6ef
	v_sub_nc_u16 v2, v161, v2
	v_mul_u32_u24_e32 v1, 39, v1
	s_delay_alu instid0(VALU_DEP_2) | instskip(NEXT) | instid1(VALU_DEP_1)
	v_and_b32_e32 v2, 0xff, v2
	v_lshlrev_b32_e32 v3, 5, v2
	s_delay_alu instid0(VALU_DEP_3) | instskip(SKIP_4) | instid1(VALU_DEP_1)
	v_add_lshl_u32 v1, v1, v2, 4
	s_clause 0x1
	global_load_b128 v[45:48], v3, s[2:3]
	global_load_b128 v[41:44], v3, s[2:3] offset:16
	v_mul_lo_u16 v3, 0x4f, v5
	v_lshrrev_b16 v3, 10, v3
	s_delay_alu instid0(VALU_DEP_1) | instskip(NEXT) | instid1(VALU_DEP_1)
	v_mul_lo_u16 v4, v3, 13
	v_sub_nc_u16 v4, v8, v4
	s_delay_alu instid0(VALU_DEP_1) | instskip(NEXT) | instid1(VALU_DEP_1)
	v_and_b32_e32 v12, 0xff, v4
	v_lshlrev_b32_e32 v4, 5, v12
	s_clause 0x1
	global_load_b128 v[49:52], v4, s[2:3]
	global_load_b128 v[53:56], v4, s[2:3] offset:16
	v_and_b32_e32 v4, 0xffff, v6
	ds_load_b128 v[13:16], v160 offset:9360
	ds_load_b128 v[21:24], v160 offset:7488
	;; [unrolled: 1-line block ×4, first 2 shown]
	v_mul_u32_u24_e32 v7, 0x4ec5, v4
	ds_load_b128 v[29:32], v160 offset:11232
	v_lshrrev_b32_e32 v63, 18, v7
	s_delay_alu instid0(VALU_DEP_1) | instskip(NEXT) | instid1(VALU_DEP_1)
	v_mul_lo_u16 v7, v63, 13
	v_sub_nc_u16 v80, v6, v7
	s_delay_alu instid0(VALU_DEP_1) | instskip(NEXT) | instid1(VALU_DEP_1)
	v_lshlrev_b16 v7, 1, v80
	v_and_b32_e32 v7, 0xffff, v7
	s_delay_alu instid0(VALU_DEP_1)
	v_lshlrev_b32_e32 v7, 4, v7
	global_load_b128 v[57:60], v7, s[2:3]
	s_waitcnt vmcnt(4) lgkmcnt(4)
	v_mul_f64 v[9:10], v[15:16], v[47:48]
	v_mul_f64 v[33:34], v[13:14], v[47:48]
	s_waitcnt vmcnt(3) lgkmcnt(2)
	v_mul_f64 v[35:36], v[19:20], v[43:44]
	v_mul_f64 v[37:38], v[17:18], v[43:44]
	s_clause 0x1
	scratch_store_b128 off, v[45:48], off offset:456
	scratch_store_b128 off, v[41:44], off offset:440
	s_waitcnt vmcnt(2)
	scratch_store_b128 off, v[49:52], off offset:536 ; 16-byte Folded Spill
	s_waitcnt vmcnt(1)
	scratch_store_b128 off, v[53:56], off offset:552 ; 16-byte Folded Spill
	v_fma_f64 v[39:40], v[13:14], v[45:46], -v[9:10]
	v_fma_f64 v[33:34], v[15:16], v[45:46], v[33:34]
	ds_load_b128 v[13:16], v160 offset:13104
	s_waitcnt lgkmcnt(1)
	v_mul_f64 v[9:10], v[31:32], v[51:52]
	v_fma_f64 v[35:36], v[17:18], v[41:42], -v[35:36]
	v_fma_f64 v[37:38], v[19:20], v[41:42], v[37:38]
	v_mul_f64 v[19:20], v[27:28], v[55:56]
	v_mul_f64 v[17:18], v[29:30], v[51:52]
	v_fma_f64 v[41:42], v[29:30], v[49:50], -v[9:10]
	v_mul_f64 v[9:10], v[25:26], v[55:56]
	s_delay_alu instid0(VALU_DEP_4) | instskip(NEXT) | instid1(VALU_DEP_4)
	v_fma_f64 v[45:46], v[25:26], v[53:54], -v[19:20]
	v_fma_f64 v[43:44], v[31:32], v[49:50], v[17:18]
	s_delay_alu instid0(VALU_DEP_3)
	v_fma_f64 v[47:48], v[27:28], v[53:54], v[9:10]
	global_load_b128 v[25:28], v7, s[2:3] offset:16
	s_waitcnt vmcnt(1) lgkmcnt(0)
	v_mul_f64 v[9:10], v[15:16], v[59:60]
	scratch_store_b128 off, v[57:60], off offset:584 ; 16-byte Folded Spill
	v_add_nc_u32_e32 v7, 0x15f, v161
	v_fma_f64 v[49:50], v[13:14], v[57:58], -v[9:10]
	v_mul_f64 v[9:10], v[13:14], v[59:60]
	s_delay_alu instid0(VALU_DEP_1)
	v_fma_f64 v[51:52], v[15:16], v[57:58], v[9:10]
	ds_load_b128 v[13:16], v160 offset:22464
	ds_load_b128 v[17:20], v160 offset:24336
	s_waitcnt vmcnt(0) lgkmcnt(1)
	v_mul_f64 v[9:10], v[15:16], v[27:28]
	scratch_store_b128 off, v[25:28], off offset:600 ; 16-byte Folded Spill
	v_fma_f64 v[53:54], v[13:14], v[25:26], -v[9:10]
	v_mul_f64 v[9:10], v[13:14], v[27:28]
	s_delay_alu instid0(VALU_DEP_1) | instskip(SKIP_1) | instid1(VALU_DEP_1)
	v_fma_f64 v[55:56], v[15:16], v[25:26], v[9:10]
	v_and_b32_e32 v10, 0xffff, v7
	v_mul_u32_u24_e32 v9, 0x4ec5, v10
	s_delay_alu instid0(VALU_DEP_1) | instskip(NEXT) | instid1(VALU_DEP_1)
	v_lshrrev_b32_e32 v81, 18, v9
	v_mul_lo_u16 v9, v81, 13
	s_delay_alu instid0(VALU_DEP_1) | instskip(NEXT) | instid1(VALU_DEP_1)
	v_sub_nc_u16 v82, v7, v9
	v_lshlrev_b16 v9, 1, v82
	s_delay_alu instid0(VALU_DEP_1) | instskip(NEXT) | instid1(VALU_DEP_1)
	v_and_b32_e32 v9, 0xffff, v9
	v_lshlrev_b32_e32 v9, 4, v9
	s_clause 0x1
	global_load_b128 v[59:62], v9, s[2:3]
	global_load_b128 v[66:69], v9, s[2:3] offset:16
	ds_load_b128 v[13:16], v160 offset:14976
	ds_load_b128 v[25:28], v160 offset:16848
	v_add_nc_u32_e32 v9, 0x1d4, v161
	v_add_f64 v[78:79], v[51:52], v[55:56]
	s_delay_alu instid0(VALU_DEP_2)
	v_and_b32_e32 v11, 0xffff, v9
	s_waitcnt vmcnt(1) lgkmcnt(1)
	v_mul_f64 v[29:30], v[15:16], v[61:62]
	scratch_store_b128 off, v[59:62], off offset:636 ; 16-byte Folded Spill
	s_waitcnt vmcnt(0)
	scratch_store_b128 off, v[66:69], off offset:616 ; 16-byte Folded Spill
	v_fma_f64 v[57:58], v[13:14], v[59:60], -v[29:30]
	v_mul_f64 v[13:14], v[13:14], v[61:62]
	s_delay_alu instid0(VALU_DEP_1) | instskip(SKIP_1) | instid1(VALU_DEP_1)
	v_fma_f64 v[59:60], v[15:16], v[59:60], v[13:14]
	v_mul_f64 v[13:14], v[19:20], v[68:69]
	v_fma_f64 v[61:62], v[17:18], v[66:67], -v[13:14]
	v_mul_f64 v[13:14], v[17:18], v[68:69]
	v_add_f64 v[68:69], v[49:50], v[53:54]
	s_delay_alu instid0(VALU_DEP_2) | instskip(SKIP_1) | instid1(VALU_DEP_1)
	v_fma_f64 v[66:67], v[19:20], v[66:67], v[13:14]
	v_mul_u32_u24_e32 v13, 0x4ec5, v11
	v_lshrrev_b32_e32 v83, 18, v13
	s_delay_alu instid0(VALU_DEP_1) | instskip(NEXT) | instid1(VALU_DEP_1)
	v_mul_lo_u16 v13, v83, 13
	v_sub_nc_u16 v84, v9, v13
	s_delay_alu instid0(VALU_DEP_1) | instskip(NEXT) | instid1(VALU_DEP_1)
	v_lshlrev_b16 v13, 1, v84
	v_and_b32_e32 v13, 0xffff, v13
	s_delay_alu instid0(VALU_DEP_1)
	v_lshlrev_b32_e32 v13, 4, v13
	s_clause 0x1
	global_load_b128 v[15:18], v13, s[2:3]
	global_load_b128 v[29:32], v13, s[2:3] offset:16
	s_waitcnt vmcnt(1) lgkmcnt(0)
	v_mul_f64 v[13:14], v[27:28], v[17:18]
	scratch_store_b128 off, v[15:18], off offset:668 ; 16-byte Folded Spill
	s_waitcnt vmcnt(0)
	scratch_store_b128 off, v[29:32], off offset:652 ; 16-byte Folded Spill
	v_fma_f64 v[70:71], v[25:26], v[15:16], -v[13:14]
	v_mul_f64 v[13:14], v[25:26], v[17:18]
	v_add_f64 v[25:26], v[39:40], v[35:36]
	s_delay_alu instid0(VALU_DEP_2) | instskip(SKIP_3) | instid1(VALU_DEP_1)
	v_fma_f64 v[72:73], v[27:28], v[15:16], v[13:14]
	ds_load_b128 v[13:16], v160 offset:26208
	s_waitcnt lgkmcnt(0)
	v_mul_f64 v[17:18], v[15:16], v[31:32]
	v_fma_f64 v[74:75], v[13:14], v[29:30], -v[17:18]
	v_mul_f64 v[13:14], v[13:14], v[31:32]
	s_delay_alu instid0(VALU_DEP_1)
	v_fma_f64 v[76:77], v[15:16], v[29:30], v[13:14]
	ds_load_b128 v[13:16], v160
	ds_load_b128 v[17:20], v160 offset:1872
	v_add_f64 v[29:30], v[33:34], -v[37:38]
	s_waitcnt lgkmcnt(1)
	v_fma_f64 v[27:28], v[25:26], -0.5, v[13:14]
	v_add_f64 v[25:26], v[33:34], v[37:38]
	v_add_f64 v[13:14], v[13:14], v[39:40]
	s_delay_alu instid0(VALU_DEP_2)
	v_fma_f64 v[31:32], v[25:26], -0.5, v[15:16]
	v_add_f64 v[15:16], v[15:16], v[33:34]
	v_add_f64 v[33:34], v[39:40], -v[35:36]
	v_fma_f64 v[25:26], v[29:30], s[0:1], v[27:28]
	v_fma_f64 v[29:30], v[29:30], s[8:9], v[27:28]
	v_add_f64 v[13:14], v[13:14], v[35:36]
	v_add_f64 v[15:16], v[15:16], v[37:38]
	v_fma_f64 v[27:28], v[33:34], s[8:9], v[31:32]
	v_fma_f64 v[31:32], v[33:34], s[0:1], v[31:32]
	v_add_f64 v[33:34], v[41:42], v[45:46]
	v_add_f64 v[37:38], v[43:44], -v[47:48]
	s_waitcnt lgkmcnt(0)
	s_delay_alu instid0(VALU_DEP_2) | instskip(SKIP_3) | instid1(VALU_DEP_3)
	v_fma_f64 v[35:36], v[33:34], -0.5, v[17:18]
	v_add_f64 v[33:34], v[43:44], v[47:48]
	v_add_f64 v[17:18], v[17:18], v[41:42]
	v_add_f64 v[41:42], v[41:42], -v[45:46]
	v_fma_f64 v[39:40], v[33:34], -0.5, v[19:20]
	v_add_f64 v[19:20], v[19:20], v[43:44]
	s_delay_alu instid0(VALU_DEP_4)
	v_add_f64 v[17:18], v[17:18], v[45:46]
	v_fma_f64 v[33:34], v[37:38], s[0:1], v[35:36]
	v_fma_f64 v[37:38], v[37:38], s[8:9], v[35:36]
	;; [unrolled: 1-line block ×3, first 2 shown]
	v_add_f64 v[19:20], v[19:20], v[47:48]
	v_fma_f64 v[39:40], v[41:42], s[0:1], v[39:40]
	ds_load_b128 v[41:44], v160 offset:3744
	ds_load_b128 v[45:48], v160 offset:5616
	s_waitcnt lgkmcnt(0)
	s_waitcnt_vscnt null, 0x0
	s_barrier
	buffer_gl0_inv
	ds_store_b128 v1, v[13:16]
	ds_store_b128 v1, v[25:28] offset:208
	scratch_store_b32 off, v1, off offset:632 ; 4-byte Folded Spill
	ds_store_b128 v1, v[29:32] offset:416
	v_and_b32_e32 v1, 0xffff, v3
	s_delay_alu instid0(VALU_DEP_1) | instskip(NEXT) | instid1(VALU_DEP_1)
	v_mul_u32_u24_e32 v1, 39, v1
	v_add_lshl_u32 v1, v1, v12, 4
	ds_store_b128 v1, v[17:20]
	ds_store_b128 v1, v[33:36] offset:208
	v_fma_f64 v[68:69], v[68:69], -0.5, v[41:42]
	v_fma_f64 v[78:79], v[78:79], -0.5, v[43:44]
	v_add_f64 v[43:44], v[43:44], v[51:52]
	v_add_f64 v[41:42], v[41:42], v[49:50]
	v_add_f64 v[51:52], v[51:52], -v[55:56]
	scratch_store_b32 off, v1, off offset:580 ; 4-byte Folded Spill
	ds_store_b128 v1, v[37:40] offset:416
	v_mad_u16 v1, v63, 39, v80
	s_delay_alu instid0(VALU_DEP_1) | instskip(NEXT) | instid1(VALU_DEP_1)
	v_and_b32_e32 v1, 0xffff, v1
	v_lshlrev_b32_e32 v1, 4, v1
	v_add_f64 v[43:44], v[43:44], v[55:56]
	v_add_f64 v[41:42], v[41:42], v[53:54]
	v_add_f64 v[55:56], v[49:50], -v[53:54]
	v_fma_f64 v[49:50], v[51:52], s[0:1], v[68:69]
	v_fma_f64 v[53:54], v[51:52], s[8:9], v[68:69]
	v_add_f64 v[68:69], v[57:58], v[61:62]
	s_delay_alu instid0(VALU_DEP_4) | instskip(SKIP_2) | instid1(VALU_DEP_4)
	v_fma_f64 v[51:52], v[55:56], s[8:9], v[78:79]
	v_fma_f64 v[55:56], v[55:56], s[0:1], v[78:79]
	v_add_f64 v[78:79], v[59:60], v[66:67]
	v_fma_f64 v[68:69], v[68:69], -0.5, v[45:46]
	v_add_f64 v[45:46], v[45:46], v[57:58]
	ds_store_b128 v1, v[41:44]
	ds_store_b128 v1, v[49:52] offset:208
	scratch_store_b32 off, v1, off offset:576 ; 4-byte Folded Spill
	ds_store_b128 v1, v[53:56] offset:416
	v_fma_f64 v[78:79], v[78:79], -0.5, v[47:48]
	v_add_f64 v[47:48], v[47:48], v[59:60]
	v_add_f64 v[59:60], v[59:60], -v[66:67]
	v_add_f64 v[45:46], v[45:46], v[61:62]
	v_add_f64 v[61:62], v[57:58], -v[61:62]
	v_mad_u16 v1, v81, 39, v82
	s_delay_alu instid0(VALU_DEP_1) | instskip(NEXT) | instid1(VALU_DEP_1)
	v_and_b32_e32 v1, 0xffff, v1
	v_lshlrev_b32_e32 v1, 4, v1
	v_add_f64 v[47:48], v[47:48], v[66:67]
	v_fma_f64 v[57:58], v[59:60], s[0:1], v[68:69]
	v_fma_f64 v[66:67], v[59:60], s[8:9], v[68:69]
	;; [unrolled: 1-line block ×4, first 2 shown]
	v_add_f64 v[78:79], v[72:73], v[76:77]
	v_add_f64 v[61:62], v[70:71], v[74:75]
	ds_store_b128 v1, v[45:48]
	ds_store_b128 v1, v[57:60] offset:208
	scratch_store_b32 off, v1, off offset:572 ; 4-byte Folded Spill
	ds_store_b128 v1, v[66:69] offset:416
	v_fma_f64 v[78:79], v[78:79], -0.5, v[23:24]
	v_add_f64 v[23:24], v[23:24], v[72:73]
	v_fma_f64 v[61:62], v[61:62], -0.5, v[21:22]
	v_add_f64 v[21:22], v[21:22], v[70:71]
	v_add_f64 v[72:73], v[72:73], -v[76:77]
	v_mad_u16 v1, v83, 39, v84
	s_delay_alu instid0(VALU_DEP_1) | instskip(NEXT) | instid1(VALU_DEP_1)
	v_and_b32_e32 v1, 0xffff, v1
	v_lshlrev_b32_e32 v2, 4, v1
	v_sub_nc_u16 v1, v161, v0
	scratch_store_b32 off, v2, off offset:568 ; 4-byte Folded Spill
	v_lshrrev_b16 v1, 1, v1
	s_delay_alu instid0(VALU_DEP_1) | instskip(NEXT) | instid1(VALU_DEP_1)
	v_and_b32_e32 v1, 0x7f, v1
	v_add_nc_u16 v0, v1, v0
	s_delay_alu instid0(VALU_DEP_1)
	v_lshrrev_b16 v0, 5, v0
	v_add_f64 v[23:24], v[23:24], v[76:77]
	v_add_f64 v[76:77], v[70:71], -v[74:75]
	v_add_f64 v[21:22], v[21:22], v[74:75]
	v_fma_f64 v[70:71], v[72:73], s[0:1], v[61:62]
	v_fma_f64 v[74:75], v[72:73], s[8:9], v[61:62]
	v_and_b32_e32 v13, 7, v0
	s_delay_alu instid0(VALU_DEP_1) | instskip(SKIP_1) | instid1(VALU_DEP_2)
	v_mul_lo_u16 v0, v13, 39
	v_and_b32_e32 v13, 0xffff, v13
	v_sub_nc_u16 v0, v161, v0
	s_delay_alu instid0(VALU_DEP_2) | instskip(NEXT) | instid1(VALU_DEP_2)
	v_mul_u32_u24_e32 v13, 0x75, v13
	v_and_b32_e32 v12, 0xff, v0
	s_delay_alu instid0(VALU_DEP_1) | instskip(NEXT) | instid1(VALU_DEP_3)
	v_lshlrev_b32_e32 v0, 5, v12
	v_add_lshl_u32 v12, v13, v12, 4
	v_fma_f64 v[72:73], v[76:77], s[8:9], v[78:79]
	v_fma_f64 v[76:77], v[76:77], s[0:1], v[78:79]
	ds_store_b128 v2, v[21:24]
	ds_store_b128 v2, v[70:73] offset:208
	ds_store_b128 v2, v[74:77] offset:416
	s_waitcnt lgkmcnt(0)
	s_waitcnt_vscnt null, 0x0
	s_barrier
	buffer_gl0_inv
	s_clause 0x1
	global_load_b128 v[20:23], v0, s[2:3] offset:416
	global_load_b128 v[32:35], v0, s[2:3] offset:432
	ds_load_b128 v[0:3], v160 offset:9360
	ds_load_b128 v[14:17], v160 offset:7488
	s_waitcnt vmcnt(1) lgkmcnt(1)
	v_mul_f64 v[18:19], v[2:3], v[22:23]
	scratch_store_b128 off, v[20:23], off offset:472 ; 16-byte Folded Spill
	v_fma_f64 v[26:27], v[0:1], v[20:21], -v[18:19]
	v_mul_f64 v[0:1], v[0:1], v[22:23]
	s_delay_alu instid0(VALU_DEP_1)
	v_fma_f64 v[28:29], v[2:3], v[20:21], v[0:1]
	ds_load_b128 v[0:3], v160 offset:18720
	ds_load_b128 v[18:21], v160 offset:20592
	s_waitcnt vmcnt(0)
	scratch_store_b128 off, v[32:35], off offset:488 ; 16-byte Folded Spill
	s_waitcnt lgkmcnt(1)
	v_mul_f64 v[22:23], v[2:3], v[34:35]
	s_delay_alu instid0(VALU_DEP_1) | instskip(SKIP_1) | instid1(VALU_DEP_1)
	v_fma_f64 v[30:31], v[0:1], v[32:33], -v[22:23]
	v_mul_f64 v[0:1], v[0:1], v[34:35]
	v_fma_f64 v[32:33], v[2:3], v[32:33], v[0:1]
	v_mul_lo_u16 v0, 0xa5, v5
	s_delay_alu instid0(VALU_DEP_1) | instskip(NEXT) | instid1(VALU_DEP_1)
	v_lshrrev_b16 v0, 8, v0
	v_sub_nc_u16 v1, v8, v0
	s_delay_alu instid0(VALU_DEP_1) | instskip(NEXT) | instid1(VALU_DEP_1)
	v_lshrrev_b16 v1, 1, v1
	v_and_b32_e32 v1, 0x7f, v1
	s_delay_alu instid0(VALU_DEP_1) | instskip(NEXT) | instid1(VALU_DEP_1)
	v_add_nc_u16 v0, v1, v0
	v_lshrrev_b16 v0, 5, v0
	s_delay_alu instid0(VALU_DEP_1) | instskip(NEXT) | instid1(VALU_DEP_1)
	v_and_b32_e32 v5, 7, v0
	v_mul_lo_u16 v0, v5, 39
	s_delay_alu instid0(VALU_DEP_1) | instskip(NEXT) | instid1(VALU_DEP_1)
	v_sub_nc_u16 v0, v8, v0
	v_and_b32_e32 v78, 0xff, v0
	s_delay_alu instid0(VALU_DEP_1)
	v_lshlrev_b32_e32 v0, 5, v78
	s_clause 0x1
	global_load_b128 v[36:39], v0, s[2:3] offset:416
	global_load_b128 v[40:43], v0, s[2:3] offset:432
	ds_load_b128 v[0:3], v160 offset:11232
	ds_load_b128 v[22:25], v160 offset:13104
	s_waitcnt vmcnt(1) lgkmcnt(1)
	v_mul_f64 v[34:35], v[2:3], v[38:39]
	scratch_store_b128 off, v[36:39], off offset:800 ; 16-byte Folded Spill
	s_waitcnt vmcnt(0)
	scratch_store_b128 off, v[40:43], off offset:784 ; 16-byte Folded Spill
	v_fma_f64 v[34:35], v[0:1], v[36:37], -v[34:35]
	v_mul_f64 v[0:1], v[0:1], v[38:39]
	s_delay_alu instid0(VALU_DEP_1) | instskip(SKIP_1) | instid1(VALU_DEP_1)
	v_fma_f64 v[36:37], v[2:3], v[36:37], v[0:1]
	v_mul_f64 v[0:1], v[20:21], v[42:43]
	v_fma_f64 v[38:39], v[18:19], v[40:41], -v[0:1]
	v_mul_f64 v[0:1], v[18:19], v[42:43]
	s_delay_alu instid0(VALU_DEP_1) | instskip(SKIP_1) | instid1(VALU_DEP_1)
	v_fma_f64 v[40:41], v[20:21], v[40:41], v[0:1]
	v_mul_u32_u24_e32 v0, 0xa41b, v4
	v_lshrrev_b32_e32 v0, 16, v0
	s_delay_alu instid0(VALU_DEP_1) | instskip(NEXT) | instid1(VALU_DEP_1)
	v_sub_nc_u16 v1, v6, v0
	v_lshrrev_b16 v1, 1, v1
	s_delay_alu instid0(VALU_DEP_1) | instskip(NEXT) | instid1(VALU_DEP_1)
	v_add_nc_u16 v0, v1, v0
	v_lshrrev_b16 v79, 5, v0
	s_delay_alu instid0(VALU_DEP_1) | instskip(NEXT) | instid1(VALU_DEP_1)
	v_mul_lo_u16 v0, v79, 39
	v_sub_nc_u16 v80, v6, v0
	s_delay_alu instid0(VALU_DEP_1) | instskip(NEXT) | instid1(VALU_DEP_1)
	v_lshlrev_b16 v0, 5, v80
	v_and_b32_e32 v0, 0xffff, v0
	s_delay_alu instid0(VALU_DEP_1) | instskip(NEXT) | instid1(VALU_DEP_1)
	v_add_co_u32 v0, s12, s2, v0
	v_add_co_ci_u32_e64 v1, null, s3, 0, s12
	s_clause 0x1
	global_load_b128 v[196:199], v[0:1], off offset:416
	global_load_b128 v[42:45], v[0:1], off offset:432
	s_waitcnt vmcnt(1) lgkmcnt(0)
	v_mul_f64 v[0:1], v[24:25], v[198:199]
	s_delay_alu instid0(VALU_DEP_1) | instskip(SKIP_1) | instid1(VALU_DEP_1)
	v_fma_f64 v[46:47], v[22:23], v[196:197], -v[0:1]
	v_mul_f64 v[0:1], v[22:23], v[198:199]
	v_fma_f64 v[48:49], v[24:25], v[196:197], v[0:1]
	ds_load_b128 v[0:3], v160 offset:22464
	ds_load_b128 v[18:21], v160 offset:24336
	s_waitcnt vmcnt(0)
	scratch_store_b128 off, v[42:45], off offset:816 ; 16-byte Folded Spill
	s_waitcnt lgkmcnt(1)
	v_mul_f64 v[22:23], v[2:3], v[44:45]
	s_delay_alu instid0(VALU_DEP_1) | instskip(SKIP_1) | instid1(VALU_DEP_2)
	v_fma_f64 v[50:51], v[0:1], v[42:43], -v[22:23]
	v_mul_f64 v[0:1], v[0:1], v[44:45]
	v_add_f64 v[72:73], v[46:47], v[50:51]
	s_delay_alu instid0(VALU_DEP_2) | instskip(SKIP_1) | instid1(VALU_DEP_1)
	v_fma_f64 v[52:53], v[2:3], v[42:43], v[0:1]
	v_mul_u32_u24_e32 v0, 0xa41b, v10
	v_lshrrev_b32_e32 v0, 16, v0
	s_delay_alu instid0(VALU_DEP_1) | instskip(NEXT) | instid1(VALU_DEP_1)
	v_sub_nc_u16 v1, v7, v0
	v_lshrrev_b16 v1, 1, v1
	s_delay_alu instid0(VALU_DEP_1) | instskip(NEXT) | instid1(VALU_DEP_1)
	v_add_nc_u16 v0, v1, v0
	v_lshrrev_b16 v81, 5, v0
	s_delay_alu instid0(VALU_DEP_1) | instskip(NEXT) | instid1(VALU_DEP_1)
	v_mul_lo_u16 v0, v81, 39
	v_sub_nc_u16 v82, v7, v0
	v_add_f64 v[74:75], v[48:49], v[52:53]
	s_delay_alu instid0(VALU_DEP_2) | instskip(NEXT) | instid1(VALU_DEP_1)
	v_lshlrev_b16 v0, 5, v82
	v_and_b32_e32 v0, 0xffff, v0
	s_delay_alu instid0(VALU_DEP_1) | instskip(NEXT) | instid1(VALU_DEP_1)
	v_add_co_u32 v0, s12, s2, v0
	v_add_co_ci_u32_e64 v1, null, s3, 0, s12
	s_clause 0x1
	global_load_b128 v[204:207], v[0:1], off offset:416
	global_load_b128 v[200:203], v[0:1], off offset:432
	ds_load_b128 v[0:3], v160 offset:14976
	ds_load_b128 v[22:25], v160 offset:16848
	s_waitcnt vmcnt(1) lgkmcnt(1)
	v_mul_f64 v[42:43], v[2:3], v[206:207]
	s_delay_alu instid0(VALU_DEP_1) | instskip(SKIP_1) | instid1(VALU_DEP_1)
	v_fma_f64 v[54:55], v[0:1], v[204:205], -v[42:43]
	v_mul_f64 v[0:1], v[0:1], v[206:207]
	v_fma_f64 v[56:57], v[2:3], v[204:205], v[0:1]
	s_waitcnt vmcnt(0)
	v_mul_f64 v[0:1], v[20:21], v[202:203]
	s_delay_alu instid0(VALU_DEP_1) | instskip(SKIP_1) | instid1(VALU_DEP_1)
	v_fma_f64 v[58:59], v[18:19], v[200:201], -v[0:1]
	v_mul_f64 v[0:1], v[18:19], v[202:203]
	v_fma_f64 v[60:61], v[20:21], v[200:201], v[0:1]
	v_mul_u32_u24_e32 v0, 0xa41b, v11
	s_delay_alu instid0(VALU_DEP_1) | instskip(NEXT) | instid1(VALU_DEP_1)
	v_lshrrev_b32_e32 v0, 16, v0
	v_sub_nc_u16 v1, v9, v0
	s_delay_alu instid0(VALU_DEP_1) | instskip(NEXT) | instid1(VALU_DEP_1)
	v_lshrrev_b16 v1, 1, v1
	v_add_nc_u16 v0, v1, v0
	s_delay_alu instid0(VALU_DEP_1) | instskip(NEXT) | instid1(VALU_DEP_1)
	v_lshrrev_b16 v83, 5, v0
	v_mul_lo_u16 v0, v83, 39
	s_delay_alu instid0(VALU_DEP_1) | instskip(NEXT) | instid1(VALU_DEP_1)
	v_sub_nc_u16 v84, v9, v0
	v_lshlrev_b16 v0, 5, v84
	s_delay_alu instid0(VALU_DEP_1) | instskip(NEXT) | instid1(VALU_DEP_1)
	v_and_b32_e32 v0, 0xffff, v0
	v_add_co_u32 v0, s12, s2, v0
	s_delay_alu instid0(VALU_DEP_1)
	v_add_co_ci_u32_e64 v1, null, s3, 0, s12
	s_clause 0x1
	global_load_b128 v[224:227], v[0:1], off offset:416
	global_load_b128 v[216:219], v[0:1], off offset:432
	s_waitcnt vmcnt(1) lgkmcnt(0)
	v_mul_f64 v[0:1], v[24:25], v[226:227]
	s_delay_alu instid0(VALU_DEP_1) | instskip(SKIP_2) | instid1(VALU_DEP_2)
	v_fma_f64 v[62:63], v[22:23], v[224:225], -v[0:1]
	v_mul_f64 v[0:1], v[22:23], v[226:227]
	v_add_f64 v[22:23], v[26:27], v[30:31]
	v_fma_f64 v[66:67], v[24:25], v[224:225], v[0:1]
	ds_load_b128 v[0:3], v160 offset:26208
	s_waitcnt vmcnt(0) lgkmcnt(0)
	v_mul_f64 v[18:19], v[2:3], v[218:219]
	s_delay_alu instid0(VALU_DEP_1) | instskip(SKIP_1) | instid1(VALU_DEP_1)
	v_fma_f64 v[68:69], v[0:1], v[216:217], -v[18:19]
	v_mul_f64 v[0:1], v[0:1], v[218:219]
	v_fma_f64 v[70:71], v[2:3], v[216:217], v[0:1]
	ds_load_b128 v[0:3], v160
	ds_load_b128 v[18:21], v160 offset:1872
	s_waitcnt lgkmcnt(1)
	v_fma_f64 v[24:25], v[22:23], -0.5, v[0:1]
	v_add_f64 v[22:23], v[28:29], v[32:33]
	v_add_f64 v[0:1], v[0:1], v[26:27]
	v_add_f64 v[76:77], v[66:67], -v[70:71]
	s_delay_alu instid0(VALU_DEP_3) | instskip(SKIP_4) | instid1(VALU_DEP_4)
	v_fma_f64 v[42:43], v[22:23], -0.5, v[2:3]
	v_add_f64 v[2:3], v[2:3], v[28:29]
	v_add_f64 v[28:29], v[28:29], -v[32:33]
	v_add_f64 v[0:1], v[0:1], v[30:31]
	v_add_f64 v[30:31], v[26:27], -v[30:31]
	v_add_f64 v[2:3], v[2:3], v[32:33]
	s_delay_alu instid0(VALU_DEP_4) | instskip(SKIP_1) | instid1(VALU_DEP_4)
	v_fma_f64 v[22:23], v[28:29], s[0:1], v[24:25]
	v_fma_f64 v[26:27], v[28:29], s[8:9], v[24:25]
	;; [unrolled: 1-line block ×4, first 2 shown]
	v_add_f64 v[30:31], v[34:35], v[38:39]
	s_waitcnt lgkmcnt(0)
	s_delay_alu instid0(VALU_DEP_1) | instskip(SKIP_2) | instid1(VALU_DEP_2)
	v_fma_f64 v[32:33], v[30:31], -0.5, v[18:19]
	v_add_f64 v[30:31], v[36:37], v[40:41]
	v_add_f64 v[18:19], v[18:19], v[34:35]
	v_fma_f64 v[42:43], v[30:31], -0.5, v[20:21]
	v_add_f64 v[20:21], v[20:21], v[36:37]
	v_add_f64 v[36:37], v[36:37], -v[40:41]
	s_delay_alu instid0(VALU_DEP_4) | instskip(SKIP_1) | instid1(VALU_DEP_4)
	v_add_f64 v[18:19], v[18:19], v[38:39]
	v_add_f64 v[38:39], v[34:35], -v[38:39]
	v_add_f64 v[20:21], v[20:21], v[40:41]
	s_delay_alu instid0(VALU_DEP_4) | instskip(SKIP_1) | instid1(VALU_DEP_4)
	v_fma_f64 v[30:31], v[36:37], s[0:1], v[32:33]
	v_fma_f64 v[34:35], v[36:37], s[8:9], v[32:33]
	;; [unrolled: 1-line block ×4, first 2 shown]
	ds_load_b128 v[38:41], v160 offset:3744
	ds_load_b128 v[42:45], v160 offset:5616
	s_waitcnt lgkmcnt(0)
	s_waitcnt_vscnt null, 0x0
	s_barrier
	buffer_gl0_inv
	ds_store_b128 v12, v[0:3]
	ds_store_b128 v12, v[22:25] offset:624
	v_and_b32_e32 v0, 0xffff, v5
	scratch_store_b32 off, v12, off offset:844 ; 4-byte Folded Spill
	ds_store_b128 v12, v[26:29] offset:1248
	v_mul_u32_u24_e32 v0, 0x75, v0
	s_delay_alu instid0(VALU_DEP_1)
	v_add_lshl_u32 v0, v0, v78, 4
	ds_store_b128 v0, v[18:21]
	ds_store_b128 v0, v[30:33] offset:624
	v_fma_f64 v[74:75], v[74:75], -0.5, v[40:41]
	v_add_f64 v[40:41], v[40:41], v[48:49]
	v_fma_f64 v[72:73], v[72:73], -0.5, v[38:39]
	v_add_f64 v[38:39], v[38:39], v[46:47]
	v_add_f64 v[48:49], v[48:49], -v[52:53]
	scratch_store_b32 off, v0, off offset:840 ; 4-byte Folded Spill
	ds_store_b128 v0, v[34:37] offset:1248
	v_mad_u16 v0, 0x75, v79, v80
	s_delay_alu instid0(VALU_DEP_1) | instskip(NEXT) | instid1(VALU_DEP_1)
	v_and_b32_e32 v0, 0xffff, v0
	v_lshlrev_b32_e32 v0, 4, v0
	v_add_f64 v[40:41], v[40:41], v[52:53]
	v_add_f64 v[52:53], v[46:47], -v[50:51]
	v_add_f64 v[38:39], v[38:39], v[50:51]
	v_fma_f64 v[46:47], v[48:49], s[0:1], v[72:73]
	v_fma_f64 v[50:51], v[48:49], s[8:9], v[72:73]
	v_add_f64 v[72:73], v[54:55], v[58:59]
	v_fma_f64 v[48:49], v[52:53], s[8:9], v[74:75]
	v_fma_f64 v[52:53], v[52:53], s[0:1], v[74:75]
	v_add_f64 v[74:75], v[56:57], v[60:61]
	ds_store_b128 v0, v[38:41]
	ds_store_b128 v0, v[46:49] offset:624
	v_fma_f64 v[72:73], v[72:73], -0.5, v[42:43]
	v_add_f64 v[42:43], v[42:43], v[54:55]
	v_fma_f64 v[74:75], v[74:75], -0.5, v[44:45]
	v_add_f64 v[44:45], v[44:45], v[56:57]
	v_add_f64 v[56:57], v[56:57], -v[60:61]
	scratch_store_b32 off, v0, off offset:836 ; 4-byte Folded Spill
	ds_store_b128 v0, v[50:53] offset:1248
	v_mad_u16 v0, 0x75, v81, v82
	s_delay_alu instid0(VALU_DEP_1) | instskip(NEXT) | instid1(VALU_DEP_1)
	v_and_b32_e32 v0, 0xffff, v0
	v_lshlrev_b32_e32 v0, 4, v0
	v_add_f64 v[42:43], v[42:43], v[58:59]
	v_add_f64 v[44:45], v[44:45], v[60:61]
	v_add_f64 v[60:61], v[54:55], -v[58:59]
	v_fma_f64 v[54:55], v[56:57], s[0:1], v[72:73]
	v_fma_f64 v[58:59], v[56:57], s[8:9], v[72:73]
	v_add_f64 v[72:73], v[62:63], v[68:69]
	s_delay_alu instid0(VALU_DEP_4) | instskip(SKIP_2) | instid1(VALU_DEP_4)
	v_fma_f64 v[56:57], v[60:61], s[8:9], v[74:75]
	v_fma_f64 v[60:61], v[60:61], s[0:1], v[74:75]
	v_add_f64 v[74:75], v[66:67], v[70:71]
	v_fma_f64 v[72:73], v[72:73], -0.5, v[14:15]
	v_add_f64 v[14:15], v[14:15], v[62:63]
	v_add_f64 v[62:63], v[62:63], -v[68:69]
	ds_store_b128 v0, v[42:45]
	ds_store_b128 v0, v[54:57] offset:624
	scratch_store_b32 off, v0, off offset:832 ; 4-byte Folded Spill
	ds_store_b128 v0, v[58:61] offset:1248
	v_fma_f64 v[74:75], v[74:75], -0.5, v[16:17]
	v_add_f64 v[16:17], v[16:17], v[66:67]
	v_add_f64 v[14:15], v[14:15], v[68:69]
	v_fma_f64 v[66:67], v[76:77], s[0:1], v[72:73]
	v_mad_u16 v0, 0x75, v83, v84
	s_delay_alu instid0(VALU_DEP_1) | instskip(NEXT) | instid1(VALU_DEP_1)
	v_and_b32_e32 v0, 0xffff, v0
	v_lshlrev_b32_e32 v0, 4, v0
	v_fma_f64 v[68:69], v[62:63], s[8:9], v[74:75]
	v_add_f64 v[16:17], v[16:17], v[70:71]
	v_fma_f64 v[70:71], v[76:77], s[8:9], v[72:73]
	v_fma_f64 v[72:73], v[62:63], s[0:1], v[74:75]
	ds_store_b128 v0, v[14:17]
	ds_store_b128 v0, v[66:69] offset:624
	scratch_store_b32 off, v0, off offset:780 ; 4-byte Folded Spill
	ds_store_b128 v0, v[70:73] offset:1248
	v_lshlrev_b32_e32 v0, 5, v161
	s_waitcnt lgkmcnt(0)
	s_waitcnt_vscnt null, 0x0
	s_barrier
	buffer_gl0_inv
	s_clause 0x1
	global_load_b128 v[128:131], v0, s[2:3] offset:1664
	global_load_b128 v[132:135], v0, s[2:3] offset:1680
	ds_load_b128 v[0:3], v160 offset:9360
	ds_load_b128 v[12:15], v160 offset:7488
	s_waitcnt vmcnt(1) lgkmcnt(1)
	v_mul_f64 v[16:17], v[2:3], v[130:131]
	s_delay_alu instid0(VALU_DEP_1) | instskip(SKIP_1) | instid1(VALU_DEP_1)
	v_fma_f64 v[24:25], v[0:1], v[128:129], -v[16:17]
	v_mul_f64 v[0:1], v[0:1], v[130:131]
	v_fma_f64 v[26:27], v[2:3], v[128:129], v[0:1]
	ds_load_b128 v[0:3], v160 offset:18720
	ds_load_b128 v[16:19], v160 offset:20592
	s_waitcnt vmcnt(0) lgkmcnt(1)
	v_mul_f64 v[20:21], v[2:3], v[134:135]
	s_delay_alu instid0(VALU_DEP_1) | instskip(SKIP_1) | instid1(VALU_DEP_1)
	v_fma_f64 v[28:29], v[0:1], v[132:133], -v[20:21]
	v_mul_f64 v[0:1], v[0:1], v[134:135]
	v_fma_f64 v[30:31], v[2:3], v[132:133], v[0:1]
	ds_load_b128 v[0:3], v160 offset:11232
	ds_load_b128 v[20:23], v160 offset:13104
	s_waitcnt lgkmcnt(1)
	v_mul_f64 v[32:33], v[2:3], v[130:131]
	s_delay_alu instid0(VALU_DEP_1) | instskip(SKIP_1) | instid1(VALU_DEP_1)
	v_fma_f64 v[32:33], v[0:1], v[128:129], -v[32:33]
	v_mul_f64 v[0:1], v[0:1], v[130:131]
	v_fma_f64 v[34:35], v[2:3], v[128:129], v[0:1]
	v_mul_f64 v[0:1], v[18:19], v[134:135]
	s_delay_alu instid0(VALU_DEP_1) | instskip(SKIP_1) | instid1(VALU_DEP_1)
	v_fma_f64 v[36:37], v[16:17], v[132:133], -v[0:1]
	v_mul_f64 v[0:1], v[16:17], v[134:135]
	v_fma_f64 v[38:39], v[18:19], v[132:133], v[0:1]
	v_mul_u32_u24_e32 v0, 0x8c09, v4
	s_delay_alu instid0(VALU_DEP_1) | instskip(NEXT) | instid1(VALU_DEP_1)
	v_lshrrev_b32_e32 v0, 22, v0
	v_mul_lo_u16 v0, 0x75, v0
	s_delay_alu instid0(VALU_DEP_1) | instskip(NEXT) | instid1(VALU_DEP_1)
	v_sub_nc_u16 v74, v6, v0
	v_lshlrev_b16 v0, 5, v74
	s_delay_alu instid0(VALU_DEP_1) | instskip(NEXT) | instid1(VALU_DEP_1)
	v_and_b32_e32 v0, 0xffff, v0
	v_add_co_u32 v0, s12, s2, v0
	s_delay_alu instid0(VALU_DEP_1)
	v_add_co_ci_u32_e64 v1, null, s3, 0, s12
	s_clause 0x1
	global_load_b128 v[16:19], v[0:1], off offset:1664
	global_load_b128 v[40:43], v[0:1], off offset:1680
	s_waitcnt vmcnt(1) lgkmcnt(0)
	v_mul_f64 v[0:1], v[22:23], v[18:19]
	scratch_store_b128 off, v[16:19], off offset:700 ; 16-byte Folded Spill
	v_fma_f64 v[4:5], v[20:21], v[16:17], -v[0:1]
	v_mul_f64 v[0:1], v[20:21], v[18:19]
	s_delay_alu instid0(VALU_DEP_1)
	v_fma_f64 v[44:45], v[22:23], v[16:17], v[0:1]
	ds_load_b128 v[0:3], v160 offset:22464
	ds_load_b128 v[16:19], v160 offset:24336
	s_waitcnt vmcnt(0)
	scratch_store_b128 off, v[40:43], off offset:684 ; 16-byte Folded Spill
	s_waitcnt lgkmcnt(1)
	v_mul_f64 v[20:21], v[2:3], v[42:43]
	s_delay_alu instid0(VALU_DEP_1) | instskip(SKIP_1) | instid1(VALU_DEP_2)
	v_fma_f64 v[46:47], v[0:1], v[40:41], -v[20:21]
	v_mul_f64 v[0:1], v[0:1], v[42:43]
	v_add_f64 v[50:51], v[4:5], v[46:47]
	s_delay_alu instid0(VALU_DEP_2) | instskip(SKIP_1) | instid1(VALU_DEP_1)
	v_fma_f64 v[48:49], v[2:3], v[40:41], v[0:1]
	v_mul_u32_u24_e32 v0, 0x8c09, v10
	v_lshrrev_b32_e32 v0, 22, v0
	s_delay_alu instid0(VALU_DEP_1) | instskip(NEXT) | instid1(VALU_DEP_1)
	v_mul_lo_u16 v0, 0x75, v0
	v_sub_nc_u16 v7, v7, v0
	s_delay_alu instid0(VALU_DEP_1) | instskip(NEXT) | instid1(VALU_DEP_1)
	v_lshlrev_b16 v0, 5, v7
	v_and_b32_e32 v0, 0xffff, v0
	s_delay_alu instid0(VALU_DEP_1) | instskip(NEXT) | instid1(VALU_DEP_1)
	v_add_co_u32 v0, s12, s2, v0
	v_add_co_ci_u32_e64 v1, null, s3, 0, s12
	s_clause 0x1
	global_load_b128 v[54:57], v[0:1], off offset:1664
	global_load_b128 v[58:61], v[0:1], off offset:1680
	ds_load_b128 v[0:3], v160 offset:14976
	ds_load_b128 v[20:23], v160 offset:16848
	v_add_f64 v[68:69], v[44:45], v[48:49]
	v_add_f64 v[70:71], v[44:45], -v[48:49]
	s_waitcnt vmcnt(1) lgkmcnt(1)
	v_mul_f64 v[40:41], v[2:3], v[56:57]
	scratch_store_b128 off, v[54:57], off offset:732 ; 16-byte Folded Spill
	s_waitcnt vmcnt(0)
	scratch_store_b128 off, v[58:61], off offset:716 ; 16-byte Folded Spill
	v_fma_f64 v[52:53], v[0:1], v[54:55], -v[40:41]
	v_mul_f64 v[0:1], v[0:1], v[56:57]
	s_delay_alu instid0(VALU_DEP_1) | instskip(SKIP_1) | instid1(VALU_DEP_1)
	v_fma_f64 v[54:55], v[2:3], v[54:55], v[0:1]
	v_mul_f64 v[0:1], v[18:19], v[60:61]
	v_fma_f64 v[56:57], v[16:17], v[58:59], -v[0:1]
	v_mul_f64 v[0:1], v[16:17], v[60:61]
	s_delay_alu instid0(VALU_DEP_1) | instskip(SKIP_1) | instid1(VALU_DEP_1)
	v_fma_f64 v[58:59], v[18:19], v[58:59], v[0:1]
	v_mul_u32_u24_e32 v0, 0x8c09, v11
	v_lshrrev_b32_e32 v0, 22, v0
	s_delay_alu instid0(VALU_DEP_1) | instskip(NEXT) | instid1(VALU_DEP_1)
	v_mul_lo_u16 v0, 0x75, v0
	v_sub_nc_u16 v75, v9, v0
	s_delay_alu instid0(VALU_DEP_1) | instskip(NEXT) | instid1(VALU_DEP_1)
	v_lshlrev_b16 v0, 5, v75
	v_and_b32_e32 v0, 0xffff, v0
	s_delay_alu instid0(VALU_DEP_1) | instskip(NEXT) | instid1(VALU_DEP_1)
	v_add_co_u32 v0, s12, s2, v0
	v_add_co_ci_u32_e64 v1, null, s3, 0, s12
	s_clause 0x1
	global_load_b128 v[16:19], v[0:1], off offset:1664
	global_load_b128 v[40:43], v[0:1], off offset:1680
	s_waitcnt vmcnt(1) lgkmcnt(0)
	v_mul_f64 v[0:1], v[22:23], v[18:19]
	scratch_store_b128 off, v[16:19], off offset:764 ; 16-byte Folded Spill
	s_waitcnt vmcnt(0)
	scratch_store_b128 off, v[40:43], off offset:748 ; 16-byte Folded Spill
	v_fma_f64 v[60:61], v[20:21], v[16:17], -v[0:1]
	v_mul_f64 v[0:1], v[20:21], v[18:19]
	v_add_f64 v[20:21], v[24:25], v[28:29]
	s_delay_alu instid0(VALU_DEP_2) | instskip(SKIP_3) | instid1(VALU_DEP_1)
	v_fma_f64 v[9:10], v[22:23], v[16:17], v[0:1]
	ds_load_b128 v[0:3], v160 offset:26208
	s_waitcnt lgkmcnt(0)
	v_mul_f64 v[16:17], v[2:3], v[42:43]
	v_fma_f64 v[62:63], v[0:1], v[40:41], -v[16:17]
	v_mul_f64 v[0:1], v[0:1], v[42:43]
	s_delay_alu instid0(VALU_DEP_1)
	v_fma_f64 v[66:67], v[2:3], v[40:41], v[0:1]
	ds_load_b128 v[0:3], v160
	ds_load_b128 v[16:19], v160 offset:1872
	s_waitcnt lgkmcnt(1)
	v_fma_f64 v[22:23], v[20:21], -0.5, v[0:1]
	v_add_f64 v[20:21], v[26:27], v[30:31]
	v_add_f64 v[0:1], v[0:1], v[24:25]
	v_add_f64 v[72:73], v[9:10], -v[66:67]
	s_delay_alu instid0(VALU_DEP_3) | instskip(SKIP_4) | instid1(VALU_DEP_4)
	v_fma_f64 v[40:41], v[20:21], -0.5, v[2:3]
	v_add_f64 v[2:3], v[2:3], v[26:27]
	v_add_f64 v[26:27], v[26:27], -v[30:31]
	v_add_f64 v[0:1], v[0:1], v[28:29]
	v_add_f64 v[28:29], v[24:25], -v[28:29]
	v_add_f64 v[2:3], v[2:3], v[30:31]
	s_delay_alu instid0(VALU_DEP_4) | instskip(SKIP_1) | instid1(VALU_DEP_4)
	v_fma_f64 v[20:21], v[26:27], s[0:1], v[22:23]
	v_fma_f64 v[24:25], v[26:27], s[8:9], v[22:23]
	;; [unrolled: 1-line block ×4, first 2 shown]
	v_add_f64 v[28:29], v[32:33], v[36:37]
	s_waitcnt lgkmcnt(0)
	s_delay_alu instid0(VALU_DEP_1) | instskip(SKIP_2) | instid1(VALU_DEP_2)
	v_fma_f64 v[30:31], v[28:29], -0.5, v[16:17]
	v_add_f64 v[28:29], v[34:35], v[38:39]
	v_add_f64 v[16:17], v[16:17], v[32:33]
	v_fma_f64 v[40:41], v[28:29], -0.5, v[18:19]
	v_add_f64 v[18:19], v[18:19], v[34:35]
	v_add_f64 v[34:35], v[34:35], -v[38:39]
	s_delay_alu instid0(VALU_DEP_4) | instskip(SKIP_1) | instid1(VALU_DEP_4)
	v_add_f64 v[16:17], v[16:17], v[36:37]
	v_add_f64 v[36:37], v[32:33], -v[36:37]
	v_add_f64 v[18:19], v[18:19], v[38:39]
	s_delay_alu instid0(VALU_DEP_4) | instskip(SKIP_1) | instid1(VALU_DEP_4)
	v_fma_f64 v[28:29], v[34:35], s[0:1], v[30:31]
	v_fma_f64 v[32:33], v[34:35], s[8:9], v[30:31]
	v_fma_f64 v[30:31], v[36:37], s[8:9], v[40:41]
	v_fma_f64 v[34:35], v[36:37], s[0:1], v[40:41]
	ds_load_b128 v[36:39], v160 offset:3744
	ds_load_b128 v[40:43], v160 offset:5616
	s_waitcnt lgkmcnt(0)
	s_waitcnt_vscnt null, 0x0
	s_barrier
	buffer_gl0_inv
	ds_store_b128 v160, v[0:3]
	ds_store_b128 v160, v[20:23] offset:1872
	ds_store_b128 v160, v[16:19] offset:5616
	;; [unrolled: 1-line block ×5, first 2 shown]
	v_fma_f64 v[50:51], v[50:51], -0.5, v[36:37]
	v_fma_f64 v[68:69], v[68:69], -0.5, v[38:39]
	v_add_f64 v[38:39], v[38:39], v[44:45]
	v_add_f64 v[36:37], v[36:37], v[4:5]
	v_add_f64 v[4:5], v[4:5], -v[46:47]
	v_and_b32_e32 v0, 0xffff, v74
	s_delay_alu instid0(VALU_DEP_1) | instskip(SKIP_1) | instid1(VALU_DEP_1)
	v_lshlrev_b32_e32 v165, 4, v0
	v_and_b32_e32 v0, 0xffff, v7
	v_lshlrev_b32_e32 v0, 4, v0
	v_fma_f64 v[44:45], v[70:71], s[0:1], v[50:51]
	v_add_f64 v[38:39], v[38:39], v[48:49]
	v_add_f64 v[36:37], v[36:37], v[46:47]
	v_fma_f64 v[48:49], v[70:71], s[8:9], v[50:51]
	v_fma_f64 v[46:47], v[4:5], s[8:9], v[68:69]
	;; [unrolled: 1-line block ×3, first 2 shown]
	v_add_f64 v[68:69], v[54:55], v[58:59]
	v_add_f64 v[4:5], v[52:53], v[56:57]
	;; [unrolled: 1-line block ×3, first 2 shown]
	ds_store_b128 v165, v[36:39] offset:11232
	ds_store_b128 v165, v[44:47] offset:13104
	v_fma_f64 v[68:69], v[68:69], -0.5, v[42:43]
	v_add_f64 v[42:43], v[42:43], v[54:55]
	v_fma_f64 v[4:5], v[4:5], -0.5, v[40:41]
	v_add_f64 v[40:41], v[40:41], v[52:53]
	v_add_f64 v[54:55], v[54:55], -v[58:59]
	s_delay_alu instid0(VALU_DEP_4) | instskip(SKIP_1) | instid1(VALU_DEP_4)
	v_add_f64 v[42:43], v[42:43], v[58:59]
	v_add_f64 v[58:59], v[52:53], -v[56:57]
	v_add_f64 v[40:41], v[40:41], v[56:57]
	s_delay_alu instid0(VALU_DEP_4)
	v_fma_f64 v[52:53], v[54:55], s[0:1], v[4:5]
	v_fma_f64 v[56:57], v[54:55], s[8:9], v[4:5]
	v_add_f64 v[4:5], v[60:61], v[62:63]
	v_fma_f64 v[54:55], v[58:59], s[8:9], v[68:69]
	v_fma_f64 v[58:59], v[58:59], s[0:1], v[68:69]
	v_add_f64 v[68:69], v[9:10], v[66:67]
	ds_store_b128 v165, v[48:51] offset:14976
	ds_store_b128 v0, v[40:43] offset:16848
	;; [unrolled: 1-line block ×3, first 2 shown]
	v_fma_f64 v[4:5], v[4:5], -0.5, v[12:13]
	scratch_store_b32 off, v0, off offset:852 ; 4-byte Folded Spill
	ds_store_b128 v0, v[56:59] offset:20592
	v_fma_f64 v[68:69], v[68:69], -0.5, v[14:15]
	v_add_f64 v[14:15], v[14:15], v[9:10]
	v_add_f64 v[9:10], v[70:71], v[62:63]
	v_and_b32_e32 v0, 0xffff, v75
	s_delay_alu instid0(VALU_DEP_1) | instskip(NEXT) | instid1(VALU_DEP_4)
	v_lshlrev_b32_e32 v0, 4, v0
	v_add_f64 v[11:12], v[14:15], v[66:67]
	v_add_f64 v[13:14], v[60:61], -v[62:63]
	v_fma_f64 v[66:67], v[72:73], s[8:9], v[4:5]
	v_fma_f64 v[60:61], v[72:73], s[0:1], v[4:5]
	s_delay_alu instid0(VALU_DEP_3)
	v_fma_f64 v[62:63], v[13:14], s[8:9], v[68:69]
	v_fma_f64 v[68:69], v[13:14], s[0:1], v[68:69]
	ds_store_b128 v0, v[9:12] offset:22464
	ds_store_b128 v0, v[60:63] offset:24336
	scratch_store_b32 off, v0, off offset:848 ; 4-byte Folded Spill
	ds_store_b128 v0, v[66:69] offset:26208
	v_lshlrev_b32_e32 v0, 6, v161
	s_waitcnt lgkmcnt(0)
	s_waitcnt_vscnt null, 0x0
	s_barrier
	buffer_gl0_inv
	ds_load_b128 v[9:12], v160 offset:3744
	v_add_co_u32 v2, s0, s2, v0
	s_delay_alu instid0(VALU_DEP_1) | instskip(SKIP_1) | instid1(VALU_DEP_2)
	v_add_co_ci_u32_e64 v3, null, s3, 0, s0
	s_mov_b32 s8, 0x134454ff
	v_add_co_u32 v0, s0, 0x1000, v2
	s_delay_alu instid0(VALU_DEP_1) | instskip(SKIP_1) | instid1(VALU_DEP_1)
	v_add_co_ci_u32_e64 v1, s0, 0, v3, s0
	v_add_co_u32 v4, s0, 0x1520, v2
	v_add_co_ci_u32_e64 v5, s0, 0, v3, s0
	global_load_b128 v[15:18], v[0:1], off offset:1312
	s_mov_b32 s9, 0x3fee6f0e
	s_mov_b32 s12, s8
	global_load_b128 v[25:28], v[4:5], off offset:48
	ds_load_b128 v[0:3], v160 offset:5616
	s_waitcnt vmcnt(1)
	scratch_store_b128 off, v[15:18], off offset:504 ; 16-byte Folded Spill
	s_clause 0x1
	global_load_b128 v[220:223], v[4:5], off offset:16
	global_load_b128 v[208:211], v[4:5], off offset:32
	s_waitcnt lgkmcnt(0)
	v_mul_f64 v[13:14], v[2:3], v[17:18]
	s_delay_alu instid0(VALU_DEP_1) | instskip(SKIP_1) | instid1(VALU_DEP_1)
	v_fma_f64 v[29:30], v[0:1], v[15:16], -v[13:14]
	v_mul_f64 v[0:1], v[0:1], v[17:18]
	v_fma_f64 v[31:32], v[2:3], v[15:16], v[0:1]
	ds_load_b128 v[0:3], v160 offset:11232
	ds_load_b128 v[13:16], v160 offset:13104
	s_waitcnt vmcnt(1) lgkmcnt(1)
	v_mul_f64 v[4:5], v[2:3], v[222:223]
	s_delay_alu instid0(VALU_DEP_1) | instskip(SKIP_1) | instid1(VALU_DEP_1)
	v_fma_f64 v[33:34], v[0:1], v[220:221], -v[4:5]
	v_mul_f64 v[0:1], v[0:1], v[222:223]
	v_fma_f64 v[35:36], v[2:3], v[220:221], v[0:1]
	ds_load_b128 v[0:3], v160 offset:16848
	ds_load_b128 v[17:20], v160 offset:14976
	s_waitcnt vmcnt(0) lgkmcnt(1)
	v_mul_f64 v[4:5], v[2:3], v[210:211]
	s_delay_alu instid0(VALU_DEP_1) | instskip(SKIP_1) | instid1(VALU_DEP_2)
	v_fma_f64 v[37:38], v[0:1], v[208:209], -v[4:5]
	v_mul_f64 v[0:1], v[0:1], v[210:211]
	v_add_f64 v[82:83], v[33:34], -v[37:38]
	s_delay_alu instid0(VALU_DEP_2)
	v_fma_f64 v[39:40], v[2:3], v[208:209], v[0:1]
	ds_load_b128 v[0:3], v160 offset:22464
	ds_load_b128 v[21:24], v160 offset:24336
	scratch_store_b128 off, v[25:28], off offset:520 ; 16-byte Folded Spill
	s_waitcnt lgkmcnt(1)
	v_mul_f64 v[4:5], v[2:3], v[27:28]
	s_delay_alu instid0(VALU_DEP_1) | instskip(SKIP_1) | instid1(VALU_DEP_2)
	v_fma_f64 v[41:42], v[0:1], v[25:26], -v[4:5]
	v_mul_f64 v[0:1], v[0:1], v[27:28]
	v_add_f64 v[80:81], v[29:30], -v[41:42]
	s_delay_alu instid0(VALU_DEP_2) | instskip(SKIP_3) | instid1(VALU_DEP_1)
	v_fma_f64 v[43:44], v[2:3], v[25:26], v[0:1]
	v_lshlrev_b32_e32 v0, 6, v8
	ds_load_b128 v[25:28], v160 offset:9360
	v_add_co_u32 v2, s0, s2, v0
	v_add_co_ci_u32_e64 v3, null, s3, 0, s0
	s_delay_alu instid0(VALU_DEP_2) | instskip(NEXT) | instid1(VALU_DEP_1)
	v_add_co_u32 v0, s0, 0x1000, v2
	v_add_co_ci_u32_e64 v1, s0, 0, v3, s0
	v_add_co_u32 v4, s0, 0x1520, v2
	s_delay_alu instid0(VALU_DEP_1)
	v_add_co_ci_u32_e64 v5, s0, 0, v3, s0
	s_clause 0x1
	global_load_b128 v[232:235], v[0:1], off offset:1312
	global_load_b128 v[212:215], v[4:5], off offset:48
	ds_load_b128 v[0:3], v160 offset:7488
	s_clause 0x1
	global_load_b128 v[240:243], v[4:5], off offset:16
	global_load_b128 v[228:231], v[4:5], off offset:32
	s_waitcnt vmcnt(3) lgkmcnt(0)
	v_mul_f64 v[7:8], v[2:3], v[234:235]
	s_delay_alu instid0(VALU_DEP_1) | instskip(SKIP_1) | instid1(VALU_DEP_1)
	v_fma_f64 v[45:46], v[0:1], v[232:233], -v[7:8]
	v_mul_f64 v[0:1], v[0:1], v[234:235]
	v_fma_f64 v[47:48], v[2:3], v[232:233], v[0:1]
	s_waitcnt vmcnt(1)
	v_mul_f64 v[0:1], v[15:16], v[242:243]
	s_delay_alu instid0(VALU_DEP_1) | instskip(SKIP_1) | instid1(VALU_DEP_1)
	v_fma_f64 v[49:50], v[13:14], v[240:241], -v[0:1]
	v_mul_f64 v[0:1], v[13:14], v[242:243]
	v_fma_f64 v[51:52], v[15:16], v[240:241], v[0:1]
	ds_load_b128 v[0:3], v160 offset:18720
	ds_load_b128 v[13:16], v160 offset:20592
	s_waitcnt vmcnt(0) lgkmcnt(1)
	v_mul_f64 v[4:5], v[2:3], v[230:231]
	s_delay_alu instid0(VALU_DEP_1) | instskip(SKIP_1) | instid1(VALU_DEP_1)
	v_fma_f64 v[53:54], v[0:1], v[228:229], -v[4:5]
	v_mul_f64 v[0:1], v[0:1], v[230:231]
	v_fma_f64 v[55:56], v[2:3], v[228:229], v[0:1]
	v_mul_f64 v[0:1], v[23:24], v[214:215]
	s_delay_alu instid0(VALU_DEP_1) | instskip(SKIP_1) | instid1(VALU_DEP_1)
	v_fma_f64 v[57:58], v[21:22], v[212:213], -v[0:1]
	v_mul_f64 v[0:1], v[21:22], v[214:215]
	v_fma_f64 v[59:60], v[23:24], v[212:213], v[0:1]
	v_lshlrev_b32_e32 v0, 6, v6
	s_delay_alu instid0(VALU_DEP_1) | instskip(NEXT) | instid1(VALU_DEP_1)
	v_add_co_u32 v2, s0, s2, v0
	v_add_co_ci_u32_e64 v3, null, s3, 0, s0
	s_mov_b32 s3, 0xbfe2cf23
	s_delay_alu instid0(VALU_DEP_2) | instskip(NEXT) | instid1(VALU_DEP_1)
	v_add_co_u32 v0, s0, 0x1000, v2
	v_add_co_ci_u32_e64 v1, s0, 0, v3, s0
	v_add_co_u32 v2, s0, 0x1520, v2
	s_delay_alu instid0(VALU_DEP_1)
	v_add_co_ci_u32_e64 v3, s0, 0, v3, s0
	s_clause 0x3
	global_load_b128 v[248:251], v[0:1], off offset:1312
	global_load_b128 v[236:239], v[2:3], off offset:48
	;; [unrolled: 1-line block ×4, first 2 shown]
	s_mov_b32 s0, 0x4755a5e
	s_mov_b32 s1, 0x3fe2cf23
	;; [unrolled: 1-line block ×3, first 2 shown]
	s_waitcnt vmcnt(3)
	v_mul_f64 v[0:1], v[27:28], v[250:251]
	s_delay_alu instid0(VALU_DEP_1) | instskip(SKIP_2) | instid1(VALU_DEP_2)
	v_fma_f64 v[61:62], v[25:26], v[248:249], -v[0:1]
	v_mul_f64 v[0:1], v[25:26], v[250:251]
	v_add_f64 v[25:26], v[31:32], -v[43:44]
	v_fma_f64 v[66:67], v[27:28], v[248:249], v[0:1]
	s_waitcnt vmcnt(1)
	v_mul_f64 v[0:1], v[19:20], v[254:255]
	v_add_f64 v[27:28], v[35:36], -v[39:40]
	s_delay_alu instid0(VALU_DEP_2) | instskip(SKIP_1) | instid1(VALU_DEP_1)
	v_fma_f64 v[68:69], v[17:18], v[252:253], -v[0:1]
	v_mul_f64 v[0:1], v[17:18], v[254:255]
	v_fma_f64 v[70:71], v[19:20], v[252:253], v[0:1]
	s_waitcnt vmcnt(0) lgkmcnt(0)
	v_mul_f64 v[0:1], v[15:16], v[246:247]
	s_delay_alu instid0(VALU_DEP_1) | instskip(SKIP_2) | instid1(VALU_DEP_2)
	v_fma_f64 v[72:73], v[13:14], v[244:245], -v[0:1]
	v_mul_f64 v[0:1], v[13:14], v[246:247]
	v_add_f64 v[13:14], v[33:34], v[37:38]
	v_fma_f64 v[74:75], v[15:16], v[244:245], v[0:1]
	ds_load_b128 v[0:3], v160 offset:26208
	s_waitcnt lgkmcnt(0)
	v_mul_f64 v[4:5], v[2:3], v[238:239]
	s_delay_alu instid0(VALU_DEP_1) | instskip(SKIP_1) | instid1(VALU_DEP_1)
	v_fma_f64 v[76:77], v[0:1], v[236:237], -v[4:5]
	v_mul_f64 v[0:1], v[0:1], v[238:239]
	v_fma_f64 v[78:79], v[2:3], v[236:237], v[0:1]
	v_add_f64 v[0:1], v[29:30], -v[33:34]
	v_add_f64 v[2:3], v[41:42], -v[37:38]
	s_delay_alu instid0(VALU_DEP_1) | instskip(SKIP_2) | instid1(VALU_DEP_1)
	v_add_f64 v[17:18], v[0:1], v[2:3]
	v_add_f64 v[0:1], v[31:32], -v[35:36]
	v_add_f64 v[2:3], v[43:44], -v[39:40]
	v_add_f64 v[19:20], v[0:1], v[2:3]
	ds_load_b128 v[0:3], v160
	ds_load_b128 v[4:7], v160 offset:1872
	s_waitcnt lgkmcnt(1)
	v_fma_f64 v[21:22], v[13:14], -0.5, v[0:1]
	v_add_f64 v[13:14], v[35:36], v[39:40]
	s_delay_alu instid0(VALU_DEP_1) | instskip(NEXT) | instid1(VALU_DEP_3)
	v_fma_f64 v[23:24], v[13:14], -0.5, v[2:3]
	v_fma_f64 v[13:14], v[25:26], s[8:9], v[21:22]
	v_fma_f64 v[21:22], v[25:26], s[12:13], v[21:22]
	s_delay_alu instid0(VALU_DEP_3) | instskip(NEXT) | instid1(VALU_DEP_3)
	v_fma_f64 v[15:16], v[80:81], s[12:13], v[23:24]
	v_fma_f64 v[13:14], v[27:28], s[0:1], v[13:14]
	s_delay_alu instid0(VALU_DEP_3) | instskip(SKIP_1) | instid1(VALU_DEP_4)
	v_fma_f64 v[21:22], v[27:28], s[2:3], v[21:22]
	v_fma_f64 v[23:24], v[80:81], s[8:9], v[23:24]
	;; [unrolled: 1-line block ×3, first 2 shown]
	s_delay_alu instid0(VALU_DEP_4) | instskip(NEXT) | instid1(VALU_DEP_4)
	v_fma_f64 v[13:14], v[17:18], s[14:15], v[13:14]
	v_fma_f64 v[17:18], v[17:18], s[14:15], v[21:22]
	v_add_f64 v[21:22], v[29:30], v[41:42]
	v_fma_f64 v[23:24], v[82:83], s[0:1], v[23:24]
	v_fma_f64 v[15:16], v[19:20], s[14:15], v[15:16]
	s_delay_alu instid0(VALU_DEP_3) | instskip(SKIP_4) | instid1(VALU_DEP_4)
	v_fma_f64 v[84:85], v[21:22], -0.5, v[0:1]
	v_add_f64 v[21:22], v[31:32], v[43:44]
	v_add_f64 v[0:1], v[0:1], v[29:30]
	v_fma_f64 v[19:20], v[19:20], s[14:15], v[23:24]
	v_add_f64 v[29:30], v[33:34], -v[29:30]
	v_fma_f64 v[86:87], v[21:22], -0.5, v[2:3]
	v_add_f64 v[2:3], v[2:3], v[31:32]
	v_add_f64 v[0:1], v[0:1], v[33:34]
	v_add_f64 v[31:32], v[35:36], -v[31:32]
	v_add_f64 v[33:34], v[37:38], -v[41:42]
	s_delay_alu instid0(VALU_DEP_4) | instskip(NEXT) | instid1(VALU_DEP_4)
	v_add_f64 v[2:3], v[2:3], v[35:36]
	v_add_f64 v[0:1], v[0:1], v[37:38]
	v_fma_f64 v[35:36], v[82:83], s[8:9], v[86:87]
	v_fma_f64 v[37:38], v[82:83], s[12:13], v[86:87]
	v_add_f64 v[29:30], v[29:30], v[33:34]
	v_add_f64 v[82:83], v[51:52], -v[55:56]
	v_add_f64 v[86:87], v[49:50], -v[53:54]
	v_add_f64 v[2:3], v[2:3], v[39:40]
	v_add_f64 v[21:22], v[0:1], v[41:42]
	v_add_f64 v[0:1], v[39:40], -v[43:44]
	v_fma_f64 v[33:34], v[80:81], s[0:1], v[37:38]
	s_delay_alu instid0(VALU_DEP_4) | instskip(SKIP_4) | instid1(VALU_DEP_4)
	v_add_f64 v[23:24], v[2:3], v[43:44]
	v_fma_f64 v[2:3], v[27:28], s[12:13], v[84:85]
	v_fma_f64 v[27:28], v[27:28], s[8:9], v[84:85]
	v_add_f64 v[0:1], v[31:32], v[0:1]
	v_add_f64 v[84:85], v[45:46], -v[57:58]
	v_fma_f64 v[2:3], v[25:26], s[0:1], v[2:3]
	s_delay_alu instid0(VALU_DEP_4) | instskip(SKIP_2) | instid1(VALU_DEP_4)
	v_fma_f64 v[31:32], v[25:26], s[2:3], v[27:28]
	v_fma_f64 v[27:28], v[80:81], s[2:3], v[35:36]
	v_add_f64 v[80:81], v[47:48], -v[59:60]
	v_fma_f64 v[25:26], v[29:30], s[14:15], v[2:3]
	s_delay_alu instid0(VALU_DEP_4) | instskip(NEXT) | instid1(VALU_DEP_4)
	v_fma_f64 v[29:30], v[29:30], s[14:15], v[31:32]
	v_fma_f64 v[27:28], v[0:1], s[14:15], v[27:28]
	;; [unrolled: 1-line block ×3, first 2 shown]
	v_add_f64 v[0:1], v[45:46], -v[49:50]
	v_add_f64 v[2:3], v[57:58], -v[53:54]
	;; [unrolled: 1-line block ×3, first 2 shown]
	s_delay_alu instid0(VALU_DEP_2) | instskip(SKIP_1) | instid1(VALU_DEP_1)
	v_add_f64 v[0:1], v[0:1], v[2:3]
	v_add_f64 v[2:3], v[47:48], -v[51:52]
	v_add_f64 v[2:3], v[2:3], v[33:34]
	v_add_f64 v[33:34], v[49:50], v[53:54]
	s_waitcnt lgkmcnt(0)
	s_delay_alu instid0(VALU_DEP_1) | instskip(SKIP_1) | instid1(VALU_DEP_1)
	v_fma_f64 v[37:38], v[33:34], -0.5, v[4:5]
	v_add_f64 v[33:34], v[51:52], v[55:56]
	v_fma_f64 v[39:40], v[33:34], -0.5, v[6:7]
	s_delay_alu instid0(VALU_DEP_3) | instskip(SKIP_1) | instid1(VALU_DEP_3)
	v_fma_f64 v[33:34], v[80:81], s[8:9], v[37:38]
	v_fma_f64 v[37:38], v[80:81], s[12:13], v[37:38]
	;; [unrolled: 1-line block ×4, first 2 shown]
	s_delay_alu instid0(VALU_DEP_4) | instskip(NEXT) | instid1(VALU_DEP_4)
	v_fma_f64 v[33:34], v[82:83], s[0:1], v[33:34]
	v_fma_f64 v[37:38], v[82:83], s[2:3], v[37:38]
	s_delay_alu instid0(VALU_DEP_4) | instskip(NEXT) | instid1(VALU_DEP_4)
	v_fma_f64 v[35:36], v[86:87], s[2:3], v[35:36]
	v_fma_f64 v[39:40], v[86:87], s[0:1], v[39:40]
	;; [unrolled: 3-line block ×3, first 2 shown]
	v_add_f64 v[0:1], v[45:46], v[57:58]
	v_fma_f64 v[35:36], v[2:3], s[14:15], v[35:36]
	v_fma_f64 v[39:40], v[2:3], s[14:15], v[39:40]
	v_add_f64 v[2:3], v[47:48], v[59:60]
	s_delay_alu instid0(VALU_DEP_4) | instskip(SKIP_2) | instid1(VALU_DEP_4)
	v_fma_f64 v[0:1], v[0:1], -0.5, v[4:5]
	v_add_f64 v[4:5], v[4:5], v[45:46]
	v_add_f64 v[45:46], v[49:50], -v[45:46]
	v_fma_f64 v[2:3], v[2:3], -0.5, v[6:7]
	v_add_f64 v[6:7], v[6:7], v[47:48]
	v_add_f64 v[47:48], v[51:52], -v[47:48]
	v_add_f64 v[4:5], v[4:5], v[49:50]
	v_add_f64 v[49:50], v[53:54], -v[57:58]
	s_delay_alu instid0(VALU_DEP_4) | instskip(SKIP_1) | instid1(VALU_DEP_4)
	v_add_f64 v[6:7], v[6:7], v[51:52]
	v_fma_f64 v[51:52], v[86:87], s[8:9], v[2:3]
	v_add_f64 v[4:5], v[4:5], v[53:54]
	v_fma_f64 v[2:3], v[86:87], s[12:13], v[2:3]
	v_add_f64 v[49:50], v[45:46], v[49:50]
	v_add_f64 v[6:7], v[6:7], v[55:56]
	s_delay_alu instid0(VALU_DEP_4)
	v_add_f64 v[41:42], v[4:5], v[57:58]
	v_add_f64 v[4:5], v[55:56], -v[59:60]
	v_fma_f64 v[2:3], v[84:85], s[0:1], v[2:3]
	v_add_f64 v[57:58], v[70:71], -v[74:75]
	v_add_f64 v[43:44], v[6:7], v[59:60]
	v_fma_f64 v[6:7], v[82:83], s[12:13], v[0:1]
	v_fma_f64 v[0:1], v[82:83], s[8:9], v[0:1]
	v_add_f64 v[4:5], v[47:48], v[4:5]
	v_fma_f64 v[47:48], v[84:85], s[2:3], v[51:52]
	v_add_f64 v[59:60], v[66:67], -v[78:79]
	v_add_f64 v[82:83], v[61:62], -v[76:77]
	v_fma_f64 v[6:7], v[80:81], s[0:1], v[6:7]
	v_fma_f64 v[0:1], v[80:81], s[2:3], v[0:1]
	;; [unrolled: 1-line block ×3, first 2 shown]
	v_add_f64 v[2:3], v[72:73], -v[76:77]
	v_fma_f64 v[47:48], v[4:5], s[14:15], v[47:48]
	v_add_f64 v[4:5], v[74:75], -v[78:79]
	v_add_f64 v[80:81], v[68:69], -v[72:73]
	v_fma_f64 v[45:46], v[49:50], s[14:15], v[6:7]
	v_fma_f64 v[49:50], v[49:50], s[14:15], v[0:1]
	v_add_f64 v[0:1], v[68:69], -v[61:62]
	v_add_f64 v[6:7], v[66:67], v[78:79]
	s_delay_alu instid0(VALU_DEP_2) | instskip(SKIP_1) | instid1(VALU_DEP_3)
	v_add_f64 v[0:1], v[0:1], v[2:3]
	v_add_f64 v[2:3], v[70:71], -v[66:67]
	v_fma_f64 v[6:7], v[6:7], -0.5, v[11:12]
	s_delay_alu instid0(VALU_DEP_2) | instskip(SKIP_1) | instid1(VALU_DEP_3)
	v_add_f64 v[2:3], v[2:3], v[4:5]
	v_add_f64 v[4:5], v[61:62], v[76:77]
	v_fma_f64 v[55:56], v[80:81], s[8:9], v[6:7]
	v_fma_f64 v[6:7], v[80:81], s[12:13], v[6:7]
	s_delay_alu instid0(VALU_DEP_3) | instskip(NEXT) | instid1(VALU_DEP_3)
	v_fma_f64 v[4:5], v[4:5], -0.5, v[9:10]
	v_fma_f64 v[55:56], v[82:83], s[2:3], v[55:56]
	s_delay_alu instid0(VALU_DEP_3) | instskip(NEXT) | instid1(VALU_DEP_3)
	v_fma_f64 v[6:7], v[82:83], s[0:1], v[6:7]
	v_fma_f64 v[53:54], v[57:58], s[12:13], v[4:5]
	;; [unrolled: 1-line block ×3, first 2 shown]
	s_delay_alu instid0(VALU_DEP_4) | instskip(NEXT) | instid1(VALU_DEP_4)
	v_fma_f64 v[55:56], v[2:3], s[14:15], v[55:56]
	v_fma_f64 v[2:3], v[2:3], s[14:15], v[6:7]
	v_add_f64 v[6:7], v[70:71], v[74:75]
	v_fma_f64 v[53:54], v[59:60], s[0:1], v[53:54]
	v_fma_f64 v[4:5], v[59:60], s[2:3], v[4:5]
	s_delay_alu instid0(VALU_DEP_3)
	v_fma_f64 v[6:7], v[6:7], -0.5, v[11:12]
	v_add_f64 v[11:12], v[11:12], v[66:67]
	v_add_f64 v[66:67], v[66:67], -v[70:71]
	v_fma_f64 v[53:54], v[0:1], s[14:15], v[53:54]
	v_fma_f64 v[0:1], v[0:1], s[14:15], v[4:5]
	v_add_f64 v[4:5], v[68:69], v[72:73]
	s_delay_alu instid0(VALU_DEP_1) | instskip(SKIP_4) | instid1(VALU_DEP_4)
	v_fma_f64 v[4:5], v[4:5], -0.5, v[9:10]
	v_add_f64 v[8:9], v[9:10], v[61:62]
	v_add_f64 v[10:11], v[11:12], v[70:71]
	v_add_f64 v[61:62], v[61:62], -v[68:69]
	v_add_f64 v[70:71], v[78:79], -v[74:75]
	v_add_f64 v[8:9], v[8:9], v[68:69]
	v_add_f64 v[68:69], v[76:77], -v[72:73]
	v_add_f64 v[10:11], v[10:11], v[74:75]
	s_delay_alu instid0(VALU_DEP_4) | instskip(NEXT) | instid1(VALU_DEP_4)
	v_add_f64 v[66:67], v[66:67], v[70:71]
	v_add_f64 v[8:9], v[8:9], v[72:73]
	v_fma_f64 v[72:73], v[59:60], s[8:9], v[4:5]
	v_fma_f64 v[4:5], v[59:60], s[12:13], v[4:5]
	;; [unrolled: 1-line block ×4, first 2 shown]
	v_add_f64 v[61:62], v[61:62], v[68:69]
	v_add_f64 v[10:11], v[10:11], v[78:79]
	;; [unrolled: 1-line block ×3, first 2 shown]
	v_fma_f64 v[68:69], v[57:58], s[0:1], v[72:73]
	v_fma_f64 v[4:5], v[57:58], s[2:3], v[4:5]
	;; [unrolled: 1-line block ×4, first 2 shown]
	s_delay_alu instid0(VALU_DEP_4) | instskip(NEXT) | instid1(VALU_DEP_4)
	v_fma_f64 v[57:58], v[61:62], s[14:15], v[68:69]
	v_fma_f64 v[4:5], v[61:62], s[14:15], v[4:5]
	s_delay_alu instid0(VALU_DEP_4) | instskip(NEXT) | instid1(VALU_DEP_4)
	v_fma_f64 v[59:60], v[66:67], s[14:15], v[59:60]
	v_fma_f64 v[6:7], v[66:67], s[14:15], v[6:7]
	ds_store_b128 v160, v[21:24]
	ds_store_b128 v160, v[41:44] offset:1872
	ds_store_b128 v160, v[25:28] offset:11232
	;; [unrolled: 1-line block ×14, first 2 shown]
	s_waitcnt lgkmcnt(0)
	s_waitcnt_vscnt null, 0x0
	s_barrier
	buffer_gl0_inv
	scratch_load_b64 v[8:9], off, off       ; 8-byte Folded Reload
	s_waitcnt vmcnt(0)
	global_load_b128 v[8:11], v[8:9], off offset:3504
	ds_load_b128 v[12:15], v160
	ds_load_b128 v[16:19], v160 offset:2160
	s_waitcnt vmcnt(0) lgkmcnt(1)
	v_mul_f64 v[20:21], v[14:15], v[10:11]
	v_mul_f64 v[22:23], v[12:13], v[10:11]
	s_delay_alu instid0(VALU_DEP_2) | instskip(NEXT) | instid1(VALU_DEP_2)
	v_fma_f64 v[10:11], v[12:13], v[8:9], -v[20:21]
	v_fma_f64 v[12:13], v[14:15], v[8:9], v[22:23]
	v_add_co_u32 v14, s0, 0x7000, v64
	s_delay_alu instid0(VALU_DEP_1) | instskip(SKIP_1) | instid1(VALU_DEP_1)
	v_add_co_ci_u32_e64 v15, s0, 0, v65, s0
	v_add_co_u32 v8, s0, 0x6db0, v64
	v_add_co_ci_u32_e64 v9, s0, 0, v65, s0
	s_clause 0x1
	global_load_b128 v[20:23], v[14:15], off offset:3728
	global_load_b128 v[24:27], v[8:9], off offset:2160
	s_waitcnt vmcnt(0) lgkmcnt(0)
	v_mul_f64 v[14:15], v[18:19], v[26:27]
	v_mul_f64 v[26:27], v[16:17], v[26:27]
	s_delay_alu instid0(VALU_DEP_2) | instskip(NEXT) | instid1(VALU_DEP_2)
	v_fma_f64 v[14:15], v[16:17], v[24:25], -v[14:15]
	v_fma_f64 v[16:17], v[18:19], v[24:25], v[26:27]
	ds_load_b128 v[24:27], v160 offset:4320
	ds_load_b128 v[28:31], v160 offset:6480
	s_waitcnt lgkmcnt(1)
	v_mul_f64 v[18:19], v[26:27], v[22:23]
	v_mul_f64 v[22:23], v[24:25], v[22:23]
	s_delay_alu instid0(VALU_DEP_2) | instskip(NEXT) | instid1(VALU_DEP_2)
	v_fma_f64 v[18:19], v[24:25], v[20:21], -v[18:19]
	v_fma_f64 v[20:21], v[26:27], v[20:21], v[22:23]
	v_add_co_u32 v26, s0, 0x8000, v64
	s_delay_alu instid0(VALU_DEP_1)
	v_add_co_ci_u32_e64 v27, s0, 0, v65, s0
	s_clause 0x1
	global_load_b128 v[22:25], v[26:27], off offset:1792
	global_load_b128 v[32:35], v[26:27], off offset:3952
	s_waitcnt vmcnt(1) lgkmcnt(0)
	v_mul_f64 v[26:27], v[30:31], v[24:25]
	v_mul_f64 v[36:37], v[28:29], v[24:25]
	s_delay_alu instid0(VALU_DEP_2) | instskip(NEXT) | instid1(VALU_DEP_2)
	v_fma_f64 v[24:25], v[28:29], v[22:23], -v[26:27]
	v_fma_f64 v[26:27], v[30:31], v[22:23], v[36:37]
	ds_load_b128 v[28:31], v160 offset:8640
	ds_load_b128 v[36:39], v160 offset:10800
	s_waitcnt vmcnt(0) lgkmcnt(1)
	v_mul_f64 v[22:23], v[30:31], v[34:35]
	v_mul_f64 v[34:35], v[28:29], v[34:35]
	s_delay_alu instid0(VALU_DEP_2) | instskip(SKIP_1) | instid1(VALU_DEP_1)
	v_fma_f64 v[28:29], v[28:29], v[32:33], -v[22:23]
	v_add_co_u32 v22, s0, 0x9000, v64
	v_add_co_ci_u32_e64 v23, s0, 0, v65, s0
	v_add_co_u32 v52, s0, 0xa000, v64
	s_delay_alu instid0(VALU_DEP_1)
	v_add_co_ci_u32_e64 v53, s0, 0, v65, s0
	v_fma_f64 v[30:31], v[30:31], v[32:33], v[34:35]
	s_clause 0x1
	global_load_b128 v[32:35], v[22:23], off offset:2016
	global_load_b128 v[40:43], v[52:53], off offset:80
	s_waitcnt vmcnt(1) lgkmcnt(0)
	v_mul_f64 v[22:23], v[38:39], v[34:35]
	v_mul_f64 v[44:45], v[36:37], v[34:35]
	s_delay_alu instid0(VALU_DEP_2) | instskip(NEXT) | instid1(VALU_DEP_2)
	v_fma_f64 v[34:35], v[36:37], v[32:33], -v[22:23]
	v_fma_f64 v[36:37], v[38:39], v[32:33], v[44:45]
	ds_load_b128 v[44:47], v160 offset:12960
	ds_load_b128 v[48:51], v160 offset:15120
	s_waitcnt vmcnt(0) lgkmcnt(1)
	v_mul_f64 v[22:23], v[46:47], v[42:43]
	v_mul_f64 v[32:33], v[44:45], v[42:43]
	s_delay_alu instid0(VALU_DEP_2) | instskip(SKIP_1) | instid1(VALU_DEP_1)
	v_fma_f64 v[38:39], v[44:45], v[40:41], -v[22:23]
	v_add_co_u32 v22, s0, 0xb000, v64
	v_add_co_ci_u32_e64 v23, s0, 0, v65, s0
	s_clause 0x1
	global_load_b128 v[42:45], v[52:53], off offset:2240
	global_load_b128 v[52:55], v[22:23], off offset:304
	v_fma_f64 v[40:41], v[46:47], v[40:41], v[32:33]
	s_waitcnt vmcnt(1) lgkmcnt(0)
	v_mul_f64 v[32:33], v[50:51], v[44:45]
	v_mul_f64 v[46:47], v[48:49], v[44:45]
	s_delay_alu instid0(VALU_DEP_2) | instskip(NEXT) | instid1(VALU_DEP_2)
	v_fma_f64 v[44:45], v[48:49], v[42:43], -v[32:33]
	v_fma_f64 v[46:47], v[50:51], v[42:43], v[46:47]
	ds_load_b128 v[48:51], v160 offset:17280
	ds_load_b128 v[56:59], v160 offset:19440
	s_waitcnt vmcnt(0) lgkmcnt(1)
	v_mul_f64 v[32:33], v[50:51], v[54:55]
	v_mul_f64 v[42:43], v[48:49], v[54:55]
	s_delay_alu instid0(VALU_DEP_2) | instskip(SKIP_1) | instid1(VALU_DEP_1)
	v_fma_f64 v[48:49], v[48:49], v[52:53], -v[32:33]
	v_add_co_u32 v32, s0, 0xc000, v64
	v_add_co_ci_u32_e64 v33, s0, 0, v65, s0
	s_delay_alu instid0(VALU_DEP_4)
	v_fma_f64 v[50:51], v[50:51], v[52:53], v[42:43]
	s_clause 0x1
	global_load_b128 v[52:55], v[22:23], off offset:2464
	global_load_b128 v[60:63], v[32:33], off offset:528
	ds_load_b128 v[66:69], v160 offset:21600
	ds_load_b128 v[70:73], v160 offset:23760
	s_waitcnt vmcnt(1) lgkmcnt(2)
	v_mul_f64 v[22:23], v[58:59], v[54:55]
	v_mul_f64 v[42:43], v[56:57], v[54:55]
	s_delay_alu instid0(VALU_DEP_2) | instskip(SKIP_2) | instid1(VALU_DEP_3)
	v_fma_f64 v[54:55], v[56:57], v[52:53], -v[22:23]
	s_waitcnt vmcnt(0) lgkmcnt(1)
	v_mul_f64 v[22:23], v[68:69], v[62:63]
	v_fma_f64 v[56:57], v[58:59], v[52:53], v[42:43]
	v_mul_f64 v[42:43], v[66:67], v[62:63]
	s_delay_alu instid0(VALU_DEP_3) | instskip(SKIP_1) | instid1(VALU_DEP_1)
	v_fma_f64 v[58:59], v[66:67], v[60:61], -v[22:23]
	v_add_co_u32 v22, s0, 0xd000, v64
	v_add_co_ci_u32_e64 v23, s0, 0, v65, s0
	s_delay_alu instid0(VALU_DEP_4)
	v_fma_f64 v[60:61], v[68:69], v[60:61], v[42:43]
	s_clause 0x1
	global_load_b128 v[66:69], v[32:33], off offset:2688
	global_load_b128 v[74:77], v[22:23], off offset:752
	ds_load_b128 v[78:81], v160 offset:25920
	s_waitcnt vmcnt(1) lgkmcnt(1)
	v_mul_f64 v[22:23], v[72:73], v[68:69]
	v_mul_f64 v[32:33], v[70:71], v[68:69]
	s_delay_alu instid0(VALU_DEP_2) | instskip(NEXT) | instid1(VALU_DEP_2)
	v_fma_f64 v[68:69], v[70:71], v[66:67], -v[22:23]
	v_fma_f64 v[70:71], v[72:73], v[66:67], v[32:33]
	s_waitcnt vmcnt(0) lgkmcnt(0)
	v_mul_f64 v[22:23], v[80:81], v[76:77]
	v_mul_f64 v[32:33], v[78:79], v[76:77]
	s_delay_alu instid0(VALU_DEP_2) | instskip(NEXT) | instid1(VALU_DEP_2)
	v_fma_f64 v[72:73], v[78:79], v[74:75], -v[22:23]
	v_fma_f64 v[74:75], v[80:81], v[74:75], v[32:33]
	ds_store_b128 v160, v[10:13]
	ds_store_b128 v160, v[14:17] offset:2160
	ds_store_b128 v160, v[18:21] offset:4320
	;; [unrolled: 1-line block ×12, first 2 shown]
	s_and_saveexec_b32 s1, vcc_lo
	s_cbranch_execz .LBB0_9
; %bb.8:
	s_clause 0x1
	global_load_b128 v[10:13], v[8:9], off offset:1872
	global_load_b128 v[14:17], v[8:9], off offset:4032
	v_add_co_u32 v18, s0, 0x1000, v8
	s_delay_alu instid0(VALU_DEP_1) | instskip(SKIP_1) | instid1(VALU_DEP_1)
	v_add_co_ci_u32_e64 v19, s0, 0, v9, s0
	v_add_co_u32 v26, s0, 0x2000, v8
	v_add_co_ci_u32_e64 v27, s0, 0, v9, s0
	s_clause 0x2
	global_load_b128 v[18:21], v[18:19], off offset:2096
	global_load_b128 v[22:25], v[26:27], off offset:160
	;; [unrolled: 1-line block ×3, first 2 shown]
	v_add_co_u32 v34, s0, 0x3000, v8
	s_delay_alu instid0(VALU_DEP_1) | instskip(SKIP_4) | instid1(VALU_DEP_1)
	v_add_co_ci_u32_e64 v35, s0, 0, v9, s0
	s_clause 0x1
	global_load_b128 v[30:33], v[34:35], off offset:384
	global_load_b128 v[34:37], v[34:35], off offset:2544
	v_add_co_u32 v42, s0, 0x4000, v8
	v_add_co_ci_u32_e64 v43, s0, 0, v9, s0
	s_clause 0x1
	global_load_b128 v[38:41], v[42:43], off offset:608
	global_load_b128 v[42:45], v[42:43], off offset:2768
	ds_load_b128 v[46:49], v160 offset:1872
	ds_load_b128 v[50:53], v160 offset:4032
	v_add_co_u32 v62, s0, 0x5000, v8
	s_delay_alu instid0(VALU_DEP_1)
	v_add_co_ci_u32_e64 v63, s0, 0, v9, s0
	ds_load_b128 v[58:61], v160 offset:6192
	global_load_b128 v[54:57], v[62:63], off offset:832
	s_waitcnt vmcnt(9) lgkmcnt(2)
	v_mul_f64 v[66:67], v[48:49], v[12:13]
	v_mul_f64 v[12:13], v[46:47], v[12:13]
	s_waitcnt vmcnt(8) lgkmcnt(1)
	v_mul_f64 v[70:71], v[52:53], v[16:17]
	v_mul_f64 v[16:17], v[50:51], v[16:17]
	s_delay_alu instid0(VALU_DEP_4)
	v_fma_f64 v[46:47], v[46:47], v[10:11], -v[66:67]
	global_load_b128 v[66:69], v[62:63], off offset:2992
	v_fma_f64 v[48:49], v[48:49], v[10:11], v[12:13]
	ds_load_b128 v[10:13], v160 offset:8352
	s_waitcnt vmcnt(8) lgkmcnt(1)
	v_mul_f64 v[62:63], v[60:61], v[20:21]
	v_fma_f64 v[52:53], v[52:53], v[14:15], v[16:17]
	v_mul_f64 v[16:17], v[58:59], v[20:21]
	v_fma_f64 v[50:51], v[50:51], v[14:15], -v[70:71]
	v_add_co_u32 v70, s0, 0x6000, v8
	s_delay_alu instid0(VALU_DEP_1)
	v_add_co_ci_u32_e64 v71, s0, 0, v9, s0
	s_waitcnt vmcnt(7) lgkmcnt(0)
	v_mul_f64 v[8:9], v[12:13], v[24:25]
	v_mul_f64 v[24:25], v[10:11], v[24:25]
	v_fma_f64 v[14:15], v[58:59], v[18:19], -v[62:63]
	v_fma_f64 v[16:17], v[60:61], v[18:19], v[16:17]
	global_load_b128 v[18:21], v[70:71], off offset:1056
	ds_load_b128 v[58:61], v160 offset:10512
	global_load_b128 v[70:73], v[70:71], off offset:3216
	v_fma_f64 v[8:9], v[10:11], v[22:23], -v[8:9]
	v_fma_f64 v[10:11], v[12:13], v[22:23], v[24:25]
	ds_load_b128 v[22:25], v160 offset:12672
	s_waitcnt vmcnt(8) lgkmcnt(1)
	v_mul_f64 v[12:13], v[60:61], v[28:29]
	v_mul_f64 v[28:29], v[58:59], v[28:29]
	s_delay_alu instid0(VALU_DEP_2) | instskip(SKIP_3) | instid1(VALU_DEP_4)
	v_fma_f64 v[58:59], v[58:59], v[26:27], -v[12:13]
	s_waitcnt vmcnt(7) lgkmcnt(0)
	v_mul_f64 v[12:13], v[24:25], v[32:33]
	v_mul_f64 v[32:33], v[22:23], v[32:33]
	v_fma_f64 v[60:61], v[60:61], v[26:27], v[28:29]
	ds_load_b128 v[26:29], v160 offset:14832
	v_fma_f64 v[22:23], v[22:23], v[30:31], -v[12:13]
	v_fma_f64 v[24:25], v[24:25], v[30:31], v[32:33]
	ds_load_b128 v[30:33], v160 offset:16992
	s_waitcnt vmcnt(6) lgkmcnt(1)
	v_mul_f64 v[12:13], v[28:29], v[36:37]
	v_mul_f64 v[36:37], v[26:27], v[36:37]
	s_delay_alu instid0(VALU_DEP_2) | instskip(SKIP_3) | instid1(VALU_DEP_4)
	v_fma_f64 v[26:27], v[26:27], v[34:35], -v[12:13]
	s_waitcnt vmcnt(5) lgkmcnt(0)
	v_mul_f64 v[12:13], v[32:33], v[40:41]
	v_mul_f64 v[40:41], v[30:31], v[40:41]
	v_fma_f64 v[28:29], v[28:29], v[34:35], v[36:37]
	ds_load_b128 v[34:37], v160 offset:19152
	v_fma_f64 v[30:31], v[30:31], v[38:39], -v[12:13]
	v_fma_f64 v[32:33], v[32:33], v[38:39], v[40:41]
	ds_load_b128 v[38:41], v160 offset:21312
	s_waitcnt vmcnt(4) lgkmcnt(1)
	v_mul_f64 v[12:13], v[36:37], v[44:45]
	v_mul_f64 v[44:45], v[34:35], v[44:45]
	s_delay_alu instid0(VALU_DEP_2) | instskip(SKIP_3) | instid1(VALU_DEP_4)
	v_fma_f64 v[34:35], v[34:35], v[42:43], -v[12:13]
	s_waitcnt vmcnt(3) lgkmcnt(0)
	v_mul_f64 v[12:13], v[40:41], v[56:57]
	v_mul_f64 v[56:57], v[38:39], v[56:57]
	v_fma_f64 v[36:37], v[36:37], v[42:43], v[44:45]
	ds_load_b128 v[42:45], v160 offset:23472
	v_fma_f64 v[38:39], v[38:39], v[54:55], -v[12:13]
	v_fma_f64 v[40:41], v[40:41], v[54:55], v[56:57]
	ds_load_b128 v[54:57], v160 offset:25632
	s_waitcnt vmcnt(2) lgkmcnt(1)
	v_mul_f64 v[12:13], v[44:45], v[68:69]
	v_mul_f64 v[62:63], v[42:43], v[68:69]
	s_delay_alu instid0(VALU_DEP_2) | instskip(NEXT) | instid1(VALU_DEP_2)
	v_fma_f64 v[42:43], v[42:43], v[66:67], -v[12:13]
	v_fma_f64 v[44:45], v[44:45], v[66:67], v[62:63]
	ds_load_b128 v[66:69], v160 offset:27792
	s_waitcnt vmcnt(1) lgkmcnt(1)
	v_mul_f64 v[12:13], v[56:57], v[20:21]
	v_mul_f64 v[20:21], v[54:55], v[20:21]
	s_delay_alu instid0(VALU_DEP_2) | instskip(NEXT) | instid1(VALU_DEP_2)
	v_fma_f64 v[54:55], v[54:55], v[18:19], -v[12:13]
	v_fma_f64 v[56:57], v[56:57], v[18:19], v[20:21]
	s_waitcnt vmcnt(0) lgkmcnt(0)
	v_mul_f64 v[12:13], v[68:69], v[72:73]
	v_mul_f64 v[20:21], v[66:67], v[72:73]
	s_delay_alu instid0(VALU_DEP_2) | instskip(NEXT) | instid1(VALU_DEP_2)
	v_fma_f64 v[18:19], v[66:67], v[70:71], -v[12:13]
	v_fma_f64 v[20:21], v[68:69], v[70:71], v[20:21]
	ds_store_b128 v160, v[46:49] offset:1872
	ds_store_b128 v160, v[50:53] offset:4032
	;; [unrolled: 1-line block ×13, first 2 shown]
.LBB0_9:
	s_or_b32 exec_lo, exec_lo, s1
	s_waitcnt lgkmcnt(0)
	s_barrier
	buffer_gl0_inv
	ds_load_b128 v[8:11], v160
	ds_load_b128 v[16:19], v160 offset:2160
	ds_load_b128 v[20:23], v160 offset:4320
	ds_load_b128 v[24:27], v160 offset:6480
	ds_load_b128 v[32:35], v160 offset:8640
	ds_load_b128 v[40:43], v160 offset:10800
	ds_load_b128 v[52:55], v160 offset:12960
	ds_load_b128 v[56:59], v160 offset:15120
	ds_load_b128 v[48:51], v160 offset:17280
	ds_load_b128 v[44:47], v160 offset:19440
	ds_load_b128 v[36:39], v160 offset:21600
	ds_load_b128 v[28:31], v160 offset:23760
	ds_load_b128 v[12:15], v160 offset:25920
	s_and_saveexec_b32 s0, vcc_lo
	s_cbranch_execz .LBB0_11
; %bb.10:
	ds_load_b128 v[0:3], v160 offset:1872
	ds_load_b128 v[4:7], v160 offset:4032
	;; [unrolled: 1-line block ×3, first 2 shown]
	s_waitcnt lgkmcnt(0)
	scratch_store_b128 off, v[60:63], off offset:56 ; 16-byte Folded Spill
	ds_load_b128 v[60:63], v160 offset:8352
	s_waitcnt lgkmcnt(0)
	scratch_store_b128 off, v[60:63], off offset:72 ; 16-byte Folded Spill
	ds_load_b128 v[60:63], v160 offset:10512
	;; [unrolled: 3-line block ×10, first 2 shown]
	s_waitcnt lgkmcnt(0)
	scratch_store_b128 off, v[60:63], off offset:8 ; 16-byte Folded Spill
.LBB0_11:
	s_or_b32 exec_lo, exec_lo, s0
	s_waitcnt lgkmcnt(11)
	v_add_f64 v[60:61], v[8:9], v[16:17]
	v_add_f64 v[62:63], v[10:11], v[18:19]
	s_waitcnt lgkmcnt(0)
	v_add_f64 v[68:69], v[18:19], -v[14:15]
	s_mov_b32 s42, 0x4267c47c
	s_mov_b32 s16, 0x42a4c3d2
	;; [unrolled: 1-line block ×12, first 2 shown]
	v_add_f64 v[70:71], v[42:43], v[50:51]
	v_add_f64 v[80:81], v[42:43], -v[50:51]
	v_add_f64 v[82:83], v[34:35], v[46:47]
	v_add_f64 v[84:85], v[34:35], -v[46:47]
	;; [unrolled: 2-line block ×4, first 2 shown]
	v_add_f64 v[18:19], v[18:19], v[14:15]
	s_mov_b32 s26, 0xe00740e9
	s_mov_b32 s22, 0x1ea71119
	;; [unrolled: 1-line block ×12, first 2 shown]
	v_add_f64 v[66:67], v[52:53], v[56:57]
	s_mov_b32 s29, 0x3fddbe06
	v_add_f64 v[60:61], v[60:61], v[20:21]
	v_add_f64 v[62:63], v[62:63], v[22:23]
	;; [unrolled: 1-line block ×3, first 2 shown]
	v_add_f64 v[16:17], v[16:17], -v[12:13]
	s_mov_b32 s35, 0x3fefc445
	s_mov_b32 s31, 0x3fedeba7
	;; [unrolled: 1-line block ×10, first 2 shown]
	s_waitcnt_vscnt null, 0x0
	v_mul_f64 v[156:157], v[70:71], s[24:25]
	v_mul_f64 v[154:155], v[80:81], s[34:35]
	;; [unrolled: 1-line block ×16, first 2 shown]
	s_barrier
	buffer_gl0_inv
	v_add_f64 v[60:61], v[60:61], v[24:25]
	v_add_f64 v[62:63], v[62:63], v[26:27]
	;; [unrolled: 1-line block ×3, first 2 shown]
	v_add_f64 v[20:21], v[20:21], -v[28:29]
	v_fma_f64 v[100:101], v[16:17], s[34:35], v[74:75]
	v_fma_f64 v[74:75], v[16:17], s[18:19], v[74:75]
	;; [unrolled: 1-line block ×6, first 2 shown]
	v_add_f64 v[60:61], v[60:61], v[32:33]
	v_add_f64 v[62:63], v[62:63], v[34:35]
	;; [unrolled: 1-line block ×3, first 2 shown]
	v_add_f64 v[24:25], v[24:25], -v[36:37]
	v_add_f64 v[136:137], v[10:11], v[100:101]
	v_add_f64 v[140:141], v[10:11], v[102:103]
	;; [unrolled: 1-line block ×7, first 2 shown]
	v_add_f64 v[32:33], v[32:33], -v[44:45]
	s_delay_alu instid0(VALU_DEP_4) | instskip(NEXT) | instid1(VALU_DEP_4)
	v_add_f64 v[60:61], v[60:61], v[52:53]
	v_add_f64 v[62:63], v[62:63], v[54:55]
	v_add_f64 v[52:53], v[52:53], -v[56:57]
	s_delay_alu instid0(VALU_DEP_3) | instskip(NEXT) | instid1(VALU_DEP_3)
	v_add_f64 v[60:61], v[60:61], v[56:57]
	v_add_f64 v[62:63], v[62:63], v[58:59]
	s_delay_alu instid0(VALU_DEP_2) | instskip(NEXT) | instid1(VALU_DEP_2)
	v_add_f64 v[60:61], v[60:61], v[48:49]
	v_add_f64 v[62:63], v[62:63], v[50:51]
	s_delay_alu instid0(VALU_DEP_2) | instskip(NEXT) | instid1(VALU_DEP_2)
	v_add_f64 v[60:61], v[60:61], v[44:45]
	v_add_f64 v[62:63], v[62:63], v[46:47]
	v_mul_f64 v[44:45], v[68:69], s[8:9]
	v_mul_f64 v[46:47], v[68:69], s[0:1]
	s_delay_alu instid0(VALU_DEP_4) | instskip(NEXT) | instid1(VALU_DEP_4)
	v_add_f64 v[60:61], v[60:61], v[36:37]
	v_add_f64 v[62:63], v[62:63], v[38:39]
	v_mul_f64 v[36:37], v[68:69], s[18:19]
	v_mul_f64 v[38:39], v[68:69], s[14:15]
	v_fma_f64 v[90:91], v[22:23], s[2:3], v[46:47]
	v_fma_f64 v[46:47], v[22:23], s[2:3], -v[46:47]
	v_add_f64 v[72:73], v[60:61], v[28:29]
	v_add_f64 v[62:63], v[62:63], v[30:31]
	v_mul_f64 v[28:29], v[68:69], s[42:43]
	v_mul_f64 v[30:31], v[68:69], s[16:17]
	v_add_f64 v[60:61], v[54:55], v[58:59]
	v_add_f64 v[58:59], v[54:55], -v[58:59]
	v_add_f64 v[54:55], v[40:41], v[48:49]
	v_add_f64 v[40:41], v[40:41], -v[48:49]
	v_fma_f64 v[56:57], v[22:23], s[24:25], v[36:37]
	v_fma_f64 v[36:37], v[22:23], s[24:25], -v[36:37]
	v_fma_f64 v[68:69], v[22:23], s[12:13], v[44:45]
	v_fma_f64 v[44:45], v[22:23], s[12:13], -v[44:45]
	v_add_f64 v[102:103], v[8:9], v[90:91]
	v_add_f64 v[12:13], v[72:73], v[12:13]
	;; [unrolled: 1-line block ×3, first 2 shown]
	v_fma_f64 v[48:49], v[22:23], s[26:27], v[28:29]
	v_fma_f64 v[28:29], v[22:23], s[26:27], -v[28:29]
	v_fma_f64 v[50:51], v[22:23], s[22:23], v[30:31]
	v_fma_f64 v[30:31], v[22:23], s[22:23], -v[30:31]
	;; [unrolled: 2-line block ×3, first 2 shown]
	v_mul_f64 v[22:23], v[18:19], s[26:27]
	v_mul_f64 v[72:73], v[18:19], s[22:23]
	;; [unrolled: 1-line block ×3, first 2 shown]
	v_add_f64 v[126:127], v[8:9], v[56:57]
	v_add_f64 v[78:79], v[8:9], v[68:69]
	v_mul_f64 v[68:69], v[92:93], s[22:23]
	v_mul_f64 v[56:57], v[86:87], s[24:25]
	;; [unrolled: 1-line block ×7, first 2 shown]
	v_add_f64 v[48:49], v[8:9], v[48:49]
	v_add_f64 v[122:123], v[8:9], v[50:51]
	v_mul_f64 v[50:51], v[88:89], s[18:19]
	v_add_f64 v[138:139], v[8:9], v[62:63]
	v_mul_f64 v[62:63], v[98:99], s[16:17]
	v_fma_f64 v[94:95], v[16:17], s[28:29], v[22:23]
	v_fma_f64 v[22:23], v[16:17], s[42:43], v[22:23]
	;; [unrolled: 1-line block ×6, first 2 shown]
	v_add_f64 v[16:17], v[8:9], v[28:29]
	v_add_f64 v[106:107], v[8:9], v[38:39]
	v_fma_f64 v[110:111], v[52:53], s[42:43], v[108:109]
	v_fma_f64 v[38:39], v[34:35], s[24:25], v[50:51]
	v_add_f64 v[120:121], v[10:11], v[94:95]
	v_add_f64 v[18:19], v[10:11], v[22:23]
	;; [unrolled: 1-line block ×8, first 2 shown]
	v_fma_f64 v[8:9], v[26:27], s[22:23], v[62:63]
	v_add_f64 v[28:29], v[10:11], v[72:73]
	v_add_f64 v[72:73], v[10:11], v[114:115]
	v_add_f64 v[100:101], v[10:11], v[116:117]
	v_add_f64 v[94:95], v[10:11], v[118:119]
	v_fma_f64 v[10:11], v[20:21], s[38:39], v[68:69]
	v_mul_f64 v[46:47], v[84:85], s[14:15]
	v_fma_f64 v[114:115], v[20:21], s[30:31], v[146:147]
	v_add_f64 v[8:9], v[8:9], v[48:49]
	v_mul_f64 v[48:49], v[82:83], s[20:21]
	v_add_f64 v[10:11], v[10:11], v[120:121]
	s_delay_alu instid0(VALU_DEP_4) | instskip(SKIP_3) | instid1(VALU_DEP_3)
	v_add_f64 v[114:115], v[114:115], v[124:125]
	v_mul_f64 v[124:125], v[88:89], s[0:1]
	v_add_f64 v[8:9], v[38:39], v[8:9]
	v_fma_f64 v[38:39], v[24:25], s[34:35], v[56:57]
	v_fma_f64 v[116:117], v[34:35], s[2:3], v[124:125]
	s_delay_alu instid0(VALU_DEP_2) | instskip(SKIP_1) | instid1(VALU_DEP_1)
	v_add_f64 v[10:11], v[38:39], v[10:11]
	v_fma_f64 v[38:39], v[42:43], s[20:21], v[46:47]
	v_add_f64 v[8:9], v[38:39], v[8:9]
	v_fma_f64 v[38:39], v[32:33], s[30:31], v[48:49]
	s_delay_alu instid0(VALU_DEP_1) | instskip(SKIP_1) | instid1(VALU_DEP_1)
	v_add_f64 v[10:11], v[38:39], v[10:11]
	v_mul_f64 v[38:39], v[80:81], s[8:9]
	v_fma_f64 v[44:45], v[54:55], s[12:13], v[38:39]
	s_delay_alu instid0(VALU_DEP_1) | instskip(SKIP_1) | instid1(VALU_DEP_1)
	v_add_f64 v[8:9], v[44:45], v[8:9]
	v_mul_f64 v[44:45], v[70:71], s[12:13]
	;; [unrolled: 4-line block ×3, first 2 shown]
	v_fma_f64 v[112:113], v[66:67], s[2:3], v[90:91]
	s_delay_alu instid0(VALU_DEP_1) | instskip(SKIP_1) | instid1(VALU_DEP_1)
	v_add_f64 v[8:9], v[112:113], v[8:9]
	v_fma_f64 v[112:113], v[52:53], s[40:41], v[142:143]
	v_add_f64 v[10:11], v[112:113], v[10:11]
	v_fma_f64 v[112:113], v[26:27], s[20:21], v[144:145]
	s_delay_alu instid0(VALU_DEP_1) | instskip(NEXT) | instid1(VALU_DEP_1)
	v_add_f64 v[112:113], v[112:113], v[122:123]
	v_add_f64 v[112:113], v[116:117], v[112:113]
	v_fma_f64 v[116:117], v[24:25], s[40:41], v[148:149]
	s_delay_alu instid0(VALU_DEP_1) | instskip(SKIP_1) | instid1(VALU_DEP_1)
	v_add_f64 v[114:115], v[116:117], v[114:115]
	v_fma_f64 v[116:117], v[42:43], s[12:13], v[150:151]
	v_add_f64 v[112:113], v[116:117], v[112:113]
	v_fma_f64 v[116:117], v[32:33], s[8:9], v[152:153]
	s_delay_alu instid0(VALU_DEP_1) | instskip(SKIP_1) | instid1(VALU_DEP_1)
	v_add_f64 v[114:115], v[116:117], v[114:115]
	v_fma_f64 v[116:117], v[54:55], s[24:25], v[154:155]
	v_add_f64 v[112:113], v[116:117], v[112:113]
	v_fma_f64 v[116:117], v[40:41], s[18:19], v[156:157]
	s_delay_alu instid0(VALU_DEP_1) | instskip(SKIP_1) | instid1(VALU_DEP_2)
	v_add_f64 v[114:115], v[116:117], v[114:115]
	v_fma_f64 v[116:117], v[66:67], s[26:27], v[158:159]
	v_add_f64 v[114:115], v[110:111], v[114:115]
	v_mul_f64 v[110:111], v[98:99], s[0:1]
	s_delay_alu instid0(VALU_DEP_3) | instskip(NEXT) | instid1(VALU_DEP_2)
	v_add_f64 v[112:113], v[116:117], v[112:113]
	v_fma_f64 v[116:117], v[26:27], s[2:3], v[110:111]
	s_delay_alu instid0(VALU_DEP_1) | instskip(SKIP_1) | instid1(VALU_DEP_1)
	v_add_f64 v[116:117], v[116:117], v[126:127]
	v_mul_f64 v[126:127], v[92:93], s[2:3]
	v_fma_f64 v[118:119], v[20:21], s[40:41], v[126:127]
	s_delay_alu instid0(VALU_DEP_1) | instskip(SKIP_1) | instid1(VALU_DEP_1)
	v_add_f64 v[118:119], v[118:119], v[136:137]
	v_mul_f64 v[136:137], v[88:89], s[30:31]
	v_fma_f64 v[120:121], v[34:35], s[20:21], v[136:137]
	s_delay_alu instid0(VALU_DEP_1) | instskip(SKIP_1) | instid1(VALU_DEP_1)
	v_add_f64 v[116:117], v[120:121], v[116:117]
	v_fma_f64 v[120:121], v[24:25], s[14:15], v[163:164]
	v_add_f64 v[118:119], v[120:121], v[118:119]
	v_fma_f64 v[120:121], v[42:43], s[26:27], v[166:167]
	s_delay_alu instid0(VALU_DEP_1) | instskip(SKIP_1) | instid1(VALU_DEP_1)
	v_add_f64 v[116:117], v[120:121], v[116:117]
	v_fma_f64 v[120:121], v[32:33], s[42:43], v[168:169]
	v_add_f64 v[118:119], v[120:121], v[118:119]
	;; [unrolled: 5-line block ×4, first 2 shown]
	v_fma_f64 v[120:121], v[26:27], s[12:13], v[178:179]
	v_fma_f64 v[178:179], v[26:27], s[12:13], -v[178:179]
	s_delay_alu instid0(VALU_DEP_2) | instskip(SKIP_1) | instid1(VALU_DEP_3)
	v_add_f64 v[120:121], v[120:121], v[138:139]
	v_mul_f64 v[138:139], v[92:93], s[12:13]
	v_add_f64 v[106:107], v[178:179], v[106:107]
	s_delay_alu instid0(VALU_DEP_2) | instskip(SKIP_1) | instid1(VALU_DEP_2)
	v_fma_f64 v[122:123], v[20:21], s[8:9], v[138:139]
	v_fma_f64 v[138:139], v[20:21], s[36:37], v[138:139]
	v_add_f64 v[122:123], v[122:123], v[140:141]
	v_mul_f64 v[140:141], v[88:89], s[28:29]
	s_delay_alu instid0(VALU_DEP_3) | instskip(NEXT) | instid1(VALU_DEP_2)
	v_add_f64 v[104:105], v[138:139], v[104:105]
	v_fma_f64 v[180:181], v[34:35], s[26:27], v[140:141]
	v_fma_f64 v[138:139], v[34:35], s[26:27], -v[140:141]
	s_delay_alu instid0(VALU_DEP_2) | instskip(SKIP_1) | instid1(VALU_DEP_3)
	v_add_f64 v[120:121], v[180:181], v[120:121]
	v_mul_f64 v[180:181], v[86:87], s[26:27]
	v_add_f64 v[106:107], v[138:139], v[106:107]
	s_delay_alu instid0(VALU_DEP_2) | instskip(SKIP_1) | instid1(VALU_DEP_2)
	v_fma_f64 v[182:183], v[24:25], s[42:43], v[180:181]
	v_fma_f64 v[138:139], v[24:25], s[28:29], v[180:181]
	v_add_f64 v[122:123], v[182:183], v[122:123]
	v_mul_f64 v[182:183], v[84:85], s[18:19]
	s_delay_alu instid0(VALU_DEP_3) | instskip(NEXT) | instid1(VALU_DEP_2)
	v_add_f64 v[104:105], v[138:139], v[104:105]
	;; [unrolled: 13-line block ×4, first 2 shown]
	v_fma_f64 v[192:193], v[66:67], s[22:23], v[190:191]
	v_fma_f64 v[104:105], v[66:67], s[22:23], -v[190:191]
	s_delay_alu instid0(VALU_DEP_2) | instskip(SKIP_1) | instid1(VALU_DEP_3)
	v_add_f64 v[120:121], v[192:193], v[120:121]
	v_mul_f64 v[192:193], v[60:61], s[22:23]
	v_add_f64 v[104:105], v[104:105], v[106:107]
	s_delay_alu instid0(VALU_DEP_2) | instskip(SKIP_2) | instid1(VALU_DEP_3)
	v_fma_f64 v[140:141], v[52:53], s[38:39], v[192:193]
	v_fma_f64 v[194:195], v[52:53], s[16:17], v[192:193]
	v_mul_f64 v[192:193], v[58:59], s[14:15]
	v_add_f64 v[106:107], v[140:141], v[138:139]
	v_mul_f64 v[138:139], v[98:99], s[34:35]
	s_delay_alu instid0(VALU_DEP_4) | instskip(SKIP_2) | instid1(VALU_DEP_4)
	v_add_f64 v[122:123], v[194:195], v[122:123]
	v_mul_f64 v[194:195], v[60:61], s[20:21]
	v_mul_f64 v[98:99], v[98:99], s[28:29]
	v_fma_f64 v[140:141], v[26:27], s[24:25], v[138:139]
	v_fma_f64 v[138:139], v[26:27], s[24:25], -v[138:139]
	s_delay_alu instid0(VALU_DEP_2) | instskip(SKIP_1) | instid1(VALU_DEP_3)
	v_add_f64 v[78:79], v[140:141], v[78:79]
	v_mul_f64 v[140:141], v[92:93], s[24:25]
	v_add_f64 v[74:75], v[138:139], v[74:75]
	v_mul_f64 v[92:93], v[92:93], s[26:27]
	s_delay_alu instid0(VALU_DEP_3) | instskip(SKIP_2) | instid1(VALU_DEP_3)
	v_fma_f64 v[178:179], v[20:21], s[18:19], v[140:141]
	v_fma_f64 v[138:139], v[20:21], s[34:35], v[140:141]
	;; [unrolled: 1-line block ×3, first 2 shown]
	v_add_f64 v[76:77], v[178:179], v[76:77]
	v_mul_f64 v[178:179], v[88:89], s[16:17]
	s_delay_alu instid0(VALU_DEP_4) | instskip(SKIP_1) | instid1(VALU_DEP_3)
	v_add_f64 v[72:73], v[138:139], v[72:73]
	v_mul_f64 v[88:89], v[88:89], s[8:9]
	v_fma_f64 v[180:181], v[34:35], s[22:23], v[178:179]
	v_fma_f64 v[138:139], v[34:35], s[22:23], -v[178:179]
	s_delay_alu instid0(VALU_DEP_2) | instskip(SKIP_1) | instid1(VALU_DEP_3)
	v_add_f64 v[78:79], v[180:181], v[78:79]
	v_mul_f64 v[180:181], v[86:87], s[22:23]
	v_add_f64 v[74:75], v[138:139], v[74:75]
	v_mul_f64 v[86:87], v[86:87], s[12:13]
	s_delay_alu instid0(VALU_DEP_3) | instskip(SKIP_1) | instid1(VALU_DEP_2)
	v_fma_f64 v[182:183], v[24:25], s[38:39], v[180:181]
	v_fma_f64 v[138:139], v[24:25], s[16:17], v[180:181]
	v_add_f64 v[76:77], v[182:183], v[76:77]
	v_mul_f64 v[182:183], v[84:85], s[40:41]
	s_delay_alu instid0(VALU_DEP_3) | instskip(SKIP_1) | instid1(VALU_DEP_3)
	v_add_f64 v[72:73], v[138:139], v[72:73]
	v_mul_f64 v[84:85], v[84:85], s[38:39]
	v_fma_f64 v[184:185], v[42:43], s[2:3], v[182:183]
	v_fma_f64 v[138:139], v[42:43], s[2:3], -v[182:183]
	s_delay_alu instid0(VALU_DEP_2) | instskip(SKIP_1) | instid1(VALU_DEP_3)
	v_add_f64 v[78:79], v[184:185], v[78:79]
	v_mul_f64 v[184:185], v[82:83], s[2:3]
	v_add_f64 v[74:75], v[138:139], v[74:75]
	v_mul_f64 v[82:83], v[82:83], s[22:23]
	s_delay_alu instid0(VALU_DEP_3) | instskip(SKIP_1) | instid1(VALU_DEP_2)
	v_fma_f64 v[186:187], v[32:33], s[0:1], v[184:185]
	v_fma_f64 v[138:139], v[32:33], s[40:41], v[184:185]
	v_add_f64 v[76:77], v[186:187], v[76:77]
	v_mul_f64 v[186:187], v[80:81], s[28:29]
	s_delay_alu instid0(VALU_DEP_3) | instskip(SKIP_1) | instid1(VALU_DEP_3)
	v_add_f64 v[72:73], v[138:139], v[72:73]
	v_mul_f64 v[80:81], v[80:81], s[14:15]
	v_fma_f64 v[188:189], v[54:55], s[26:27], v[186:187]
	v_fma_f64 v[138:139], v[54:55], s[26:27], -v[186:187]
	s_delay_alu instid0(VALU_DEP_2) | instskip(SKIP_1) | instid1(VALU_DEP_3)
	v_add_f64 v[78:79], v[188:189], v[78:79]
	v_mul_f64 v[188:189], v[70:71], s[26:27]
	v_add_f64 v[74:75], v[138:139], v[74:75]
	v_mul_f64 v[70:71], v[70:71], s[20:21]
	s_delay_alu instid0(VALU_DEP_3) | instskip(SKIP_1) | instid1(VALU_DEP_2)
	v_fma_f64 v[138:139], v[40:41], s[28:29], v[188:189]
	v_fma_f64 v[190:191], v[40:41], s[42:43], v[188:189]
	v_add_f64 v[138:139], v[138:139], v[72:73]
	v_fma_f64 v[72:73], v[66:67], s[20:21], -v[192:193]
	s_delay_alu instid0(VALU_DEP_3) | instskip(SKIP_1) | instid1(VALU_DEP_3)
	v_add_f64 v[190:191], v[190:191], v[76:77]
	v_fma_f64 v[76:77], v[66:67], s[20:21], v[192:193]
	v_add_f64 v[72:73], v[72:73], v[74:75]
	v_add_f64 v[74:75], v[140:141], v[138:139]
	v_fma_f64 v[138:139], v[26:27], s[26:27], v[98:99]
	v_fma_f64 v[98:99], v[26:27], s[26:27], -v[98:99]
	v_mul_f64 v[140:141], v[60:61], s[24:25]
	v_add_f64 v[76:77], v[76:77], v[78:79]
	v_fma_f64 v[78:79], v[52:53], s[30:31], v[194:195]
	v_add_f64 v[102:103], v[138:139], v[102:103]
	v_fma_f64 v[138:139], v[20:21], s[42:43], v[92:93]
	v_fma_f64 v[92:93], v[20:21], s[28:29], v[92:93]
	v_add_f64 v[96:97], v[98:99], v[96:97]
	v_fma_f64 v[60:61], v[52:53], s[18:19], v[140:141]
	v_add_f64 v[78:79], v[78:79], v[190:191]
	v_add_f64 v[100:101], v[138:139], v[100:101]
	v_fma_f64 v[138:139], v[34:35], s[12:13], v[88:89]
	v_add_f64 v[92:93], v[92:93], v[94:95]
	v_fma_f64 v[88:89], v[34:35], s[12:13], -v[88:89]
	s_delay_alu instid0(VALU_DEP_3) | instskip(SKIP_2) | instid1(VALU_DEP_4)
	v_add_f64 v[102:103], v[138:139], v[102:103]
	v_fma_f64 v[138:139], v[24:25], s[36:37], v[86:87]
	v_fma_f64 v[86:87], v[24:25], s[8:9], v[86:87]
	v_add_f64 v[88:89], v[88:89], v[96:97]
	s_delay_alu instid0(VALU_DEP_3) | instskip(SKIP_1) | instid1(VALU_DEP_4)
	v_add_f64 v[100:101], v[138:139], v[100:101]
	v_fma_f64 v[138:139], v[42:43], s[22:23], v[84:85]
	v_add_f64 v[86:87], v[86:87], v[92:93]
	v_fma_f64 v[84:85], v[42:43], s[22:23], -v[84:85]
	v_fma_f64 v[92:93], v[24:25], s[30:31], v[163:164]
	s_delay_alu instid0(VALU_DEP_4) | instskip(SKIP_4) | instid1(VALU_DEP_4)
	v_add_f64 v[102:103], v[138:139], v[102:103]
	v_fma_f64 v[138:139], v[32:33], s[16:17], v[82:83]
	v_fma_f64 v[82:83], v[32:33], s[38:39], v[82:83]
	v_add_f64 v[84:85], v[84:85], v[88:89]
	v_fma_f64 v[88:89], v[34:35], s[20:21], -v[136:137]
	v_add_f64 v[100:101], v[138:139], v[100:101]
	v_fma_f64 v[138:139], v[54:55], s[20:21], v[80:81]
	v_add_f64 v[82:83], v[82:83], v[86:87]
	v_fma_f64 v[80:81], v[54:55], s[20:21], -v[80:81]
	v_fma_f64 v[86:87], v[20:21], s[0:1], v[126:127]
	s_delay_alu instid0(VALU_DEP_4)
	v_add_f64 v[102:103], v[138:139], v[102:103]
	v_fma_f64 v[138:139], v[40:41], s[30:31], v[70:71]
	v_fma_f64 v[70:71], v[40:41], s[14:15], v[70:71]
	v_add_f64 v[80:81], v[80:81], v[84:85]
	v_fma_f64 v[84:85], v[52:53], s[34:35], v[140:141]
	v_add_f64 v[36:37], v[86:87], v[36:37]
	v_add_f64 v[100:101], v[138:139], v[100:101]
	v_mul_f64 v[138:139], v[58:59], s[34:35]
	v_add_f64 v[70:71], v[70:71], v[82:83]
	s_delay_alu instid0(VALU_DEP_4) | instskip(NEXT) | instid1(VALU_DEP_4)
	v_add_f64 v[36:37], v[92:93], v[36:37]
	v_add_f64 v[60:61], v[60:61], v[100:101]
	s_delay_alu instid0(VALU_DEP_4) | instskip(SKIP_1) | instid1(VALU_DEP_2)
	v_fma_f64 v[82:83], v[66:67], s[24:25], -v[138:139]
	v_fma_f64 v[58:59], v[66:67], s[24:25], v[138:139]
	v_add_f64 v[80:81], v[82:83], v[80:81]
	v_add_f64 v[82:83], v[84:85], v[70:71]
	v_fma_f64 v[70:71], v[26:27], s[20:21], -v[144:145]
	v_fma_f64 v[84:85], v[26:27], s[2:3], -v[110:111]
	;; [unrolled: 1-line block ×3, first 2 shown]
	v_fma_f64 v[62:63], v[20:21], s[14:15], v[146:147]
	v_fma_f64 v[20:21], v[20:21], s[16:17], v[68:69]
	v_fma_f64 v[68:69], v[34:35], s[2:3], -v[124:125]
	v_fma_f64 v[34:35], v[34:35], s[24:25], -v[50:51]
	v_fma_f64 v[50:51], v[24:25], s[0:1], v[148:149]
	v_fma_f64 v[24:25], v[24:25], s[18:19], v[56:57]
	;; [unrolled: 1-line block ×3, first 2 shown]
	v_add_f64 v[58:59], v[58:59], v[102:103]
	v_add_f64 v[22:23], v[70:71], v[22:23]
	;; [unrolled: 1-line block ×6, first 2 shown]
	v_fma_f64 v[20:21], v[42:43], s[12:13], -v[150:151]
	v_fma_f64 v[26:27], v[42:43], s[26:27], -v[166:167]
	;; [unrolled: 1-line block ×3, first 2 shown]
	v_fma_f64 v[46:47], v[32:33], s[36:37], v[152:153]
	v_fma_f64 v[32:33], v[32:33], s[14:15], v[48:49]
	v_add_f64 v[22:23], v[68:69], v[22:23]
	v_add_f64 v[30:31], v[88:89], v[30:31]
	;; [unrolled: 1-line block ×5, first 2 shown]
	v_fma_f64 v[34:35], v[40:41], s[34:35], v[156:157]
	v_add_f64 v[20:21], v[20:21], v[22:23]
	v_add_f64 v[24:25], v[26:27], v[30:31]
	v_add_f64 v[26:27], v[56:57], v[36:37]
	v_add_f64 v[22:23], v[46:47], v[28:29]
	v_add_f64 v[16:17], v[42:43], v[16:17]
	v_add_f64 v[18:19], v[32:33], v[18:19]
	v_fma_f64 v[28:29], v[54:55], s[24:25], -v[154:155]
	v_fma_f64 v[30:31], v[54:55], s[22:23], -v[170:171]
	;; [unrolled: 1-line block ×3, first 2 shown]
	v_fma_f64 v[36:37], v[40:41], s[16:17], v[172:173]
	v_fma_f64 v[38:39], v[40:41], s[8:9], v[44:45]
	v_add_f64 v[22:23], v[34:35], v[22:23]
	v_fma_f64 v[34:35], v[66:67], s[2:3], -v[90:91]
	v_add_f64 v[20:21], v[28:29], v[20:21]
	v_add_f64 v[24:25], v[30:31], v[24:25]
	;; [unrolled: 1-line block ×5, first 2 shown]
	v_fma_f64 v[16:17], v[66:67], s[26:27], -v[158:159]
	v_fma_f64 v[32:33], v[66:67], s[12:13], -v[174:175]
	v_fma_f64 v[18:19], v[52:53], s[28:29], v[108:109]
	v_fma_f64 v[36:37], v[52:53], s[8:9], v[176:177]
	;; [unrolled: 1-line block ×3, first 2 shown]
	v_add_f64 v[16:17], v[16:17], v[20:21]
	v_add_f64 v[20:21], v[32:33], v[24:25]
	;; [unrolled: 1-line block ×6, first 2 shown]
	ds_store_b128 v162, v[112:115] offset:32
	ds_store_b128 v162, v[116:119] offset:48
	;; [unrolled: 1-line block ×9, first 2 shown]
	ds_store_b128 v162, v[12:15]
	ds_store_b128 v162, v[20:23] offset:160
	ds_store_b128 v162, v[16:19] offset:176
	;; [unrolled: 1-line block ×3, first 2 shown]
	s_and_saveexec_b32 s33, vcc_lo
	s_cbranch_execz .LBB0_13
; %bb.12:
	s_clause 0x6
	scratch_load_b128 v[108:111], off, off offset:56
	scratch_load_b128 v[176:179], off, off offset:40
	;; [unrolled: 1-line block ×7, first 2 shown]
	v_add_f64 v[8:9], v[2:3], v[6:7]
	v_add_f64 v[10:11], v[0:1], v[4:5]
	s_clause 0x1
	scratch_load_b128 v[168:171], off, off offset:8
	scratch_load_b128 v[172:175], off, off offset:24
	s_waitcnt vmcnt(8)
	v_add_f64 v[8:9], v[8:9], v[110:111]
	v_add_f64 v[10:11], v[10:11], v[108:109]
	s_waitcnt vmcnt(6)
	v_add_f64 v[96:97], v[102:103], -v[178:179]
	v_add_f64 v[98:99], v[102:103], v[178:179]
	v_add_f64 v[94:95], v[100:101], -v[176:177]
	s_waitcnt vmcnt(2)
	v_add_f64 v[40:41], v[18:19], -v[22:23]
	v_add_f64 v[42:43], v[20:21], -v[24:25]
	v_add_f64 v[44:45], v[20:21], v[24:25]
	v_add_f64 v[46:47], v[18:19], v[22:23]
	s_waitcnt vmcnt(1)
	v_add_f64 v[12:13], v[4:5], -v[168:169]
	v_add_f64 v[4:5], v[4:5], v[168:169]
	s_waitcnt vmcnt(0)
	v_add_f64 v[106:107], v[110:111], v[174:175]
	v_add_f64 v[104:105], v[110:111], -v[174:175]
	v_add_f64 v[8:9], v[8:9], v[102:103]
	v_add_f64 v[10:11], v[10:11], v[100:101]
	v_add_f64 v[102:103], v[108:109], -v[172:173]
	v_add_f64 v[108:109], v[108:109], v[172:173]
	v_add_f64 v[100:101], v[100:101], v[176:177]
	v_mul_f64 v[122:123], v[94:95], s[0:1]
	v_mul_f64 v[112:113], v[40:41], s[34:35]
	;; [unrolled: 1-line block ×10, first 2 shown]
	v_add_f64 v[8:9], v[8:9], v[92:93]
	v_add_f64 v[10:11], v[10:11], v[90:91]
	v_mul_f64 v[118:119], v[102:103], s[14:15]
	v_mul_f64 v[146:147], v[102:103], s[0:1]
	s_delay_alu instid0(VALU_DEP_4) | instskip(NEXT) | instid1(VALU_DEP_4)
	v_add_f64 v[8:9], v[8:9], v[16:17]
	v_add_f64 v[10:11], v[10:11], v[14:15]
	s_delay_alu instid0(VALU_DEP_2) | instskip(NEXT) | instid1(VALU_DEP_2)
	v_add_f64 v[8:9], v[8:9], v[20:21]
	v_add_f64 v[10:11], v[10:11], v[18:19]
	scratch_load_b128 v[18:21], off, off offset:136 ; 16-byte Folded Reload
	v_add_f64 v[8:9], v[8:9], v[24:25]
	v_add_f64 v[10:11], v[10:11], v[22:23]
	v_mul_f64 v[22:23], v[12:13], s[18:19]
	v_mul_f64 v[24:25], v[12:13], s[16:17]
	s_waitcnt vmcnt(0)
	v_add_f64 v[48:49], v[14:15], -v[18:19]
	v_add_f64 v[50:51], v[16:17], -v[20:21]
	v_add_f64 v[52:53], v[16:17], v[20:21]
	v_add_f64 v[54:55], v[14:15], v[18:19]
	;; [unrolled: 1-line block ×3, first 2 shown]
	v_mul_f64 v[16:17], v[12:13], s[0:1]
	v_add_f64 v[8:9], v[8:9], v[20:21]
	v_add_f64 v[10:11], v[10:11], v[18:19]
	v_add_f64 v[6:7], v[6:7], -v[170:171]
	v_mul_f64 v[18:19], v[12:13], s[8:9]
	v_mul_f64 v[20:21], v[12:13], s[14:15]
	;; [unrolled: 1-line block ×5, first 2 shown]
	v_fma_f64 v[32:33], v[14:15], s[24:25], v[22:23]
	v_fma_f64 v[26:27], v[14:15], s[2:3], v[16:17]
	v_fma_f64 v[16:17], v[14:15], s[2:3], -v[16:17]
	v_fma_f64 v[22:23], v[14:15], s[24:25], -v[22:23]
	v_fma_f64 v[34:35], v[14:15], s[22:23], v[24:25]
	v_fma_f64 v[28:29], v[14:15], s[12:13], v[18:19]
	v_fma_f64 v[18:19], v[14:15], s[12:13], -v[18:19]
	v_fma_f64 v[30:31], v[14:15], s[20:21], v[20:21]
	v_fma_f64 v[20:21], v[14:15], s[20:21], -v[20:21]
	v_fma_f64 v[24:25], v[14:15], s[22:23], -v[24:25]
	v_fma_f64 v[36:37], v[14:15], s[26:27], v[12:13]
	v_fma_f64 v[12:13], v[14:15], s[26:27], -v[12:13]
	v_mul_f64 v[14:15], v[6:7], s[0:1]
	v_mul_f64 v[38:39], v[6:7], s[8:9]
	;; [unrolled: 1-line block ×6, first 2 shown]
	v_add_f64 v[32:33], v[2:3], v[32:33]
	v_add_f64 v[16:17], v[2:3], v[16:17]
	;; [unrolled: 1-line block ×8, first 2 shown]
	v_fma_f64 v[62:63], v[4:5], s[2:3], -v[14:15]
	v_fma_f64 v[14:15], v[4:5], s[2:3], v[14:15]
	v_fma_f64 v[66:67], v[4:5], s[12:13], -v[38:39]
	v_fma_f64 v[38:39], v[4:5], s[12:13], v[38:39]
	;; [unrolled: 2-line block ×6, first 2 shown]
	v_add_f64 v[6:7], v[2:3], v[26:27]
	v_add_f64 v[26:27], v[0:1], v[62:63]
	;; [unrolled: 1-line block ×16, first 2 shown]
	scratch_load_b128 v[0:3], off, off offset:104 ; 16-byte Folded Reload
	v_mul_f64 v[4:5], v[102:103], s[28:29]
	s_waitcnt vmcnt(0)
	v_add_f64 v[84:85], v[90:91], -v[0:1]
	v_add_f64 v[86:87], v[92:93], -v[2:3]
	v_add_f64 v[88:89], v[92:93], v[2:3]
	v_add_f64 v[90:91], v[90:91], v[0:1]
	;; [unrolled: 1-line block ×4, first 2 shown]
	v_fma_f64 v[0:1], v[106:107], s[26:27], v[4:5]
	v_mul_f64 v[8:9], v[94:95], s[8:9]
	v_fma_f64 v[4:5], v[106:107], s[26:27], -v[4:5]
	v_mul_f64 v[126:127], v[84:85], s[36:37]
	v_mul_f64 v[136:137], v[86:87], s[36:37]
	v_add_f64 v[0:1], v[0:1], v[6:7]
	v_mul_f64 v[6:7], v[104:105], s[28:29]
	v_fma_f64 v[10:11], v[98:99], s[12:13], v[8:9]
	v_add_f64 v[4:5], v[4:5], v[16:17]
	v_fma_f64 v[8:9], v[98:99], s[12:13], -v[8:9]
	v_mul_f64 v[16:17], v[94:95], s[16:17]
	v_fma_f64 v[2:3], v[108:109], s[26:27], -v[6:7]
	v_add_f64 v[0:1], v[10:11], v[0:1]
	v_mul_f64 v[10:11], v[96:97], s[8:9]
	v_fma_f64 v[6:7], v[108:109], s[26:27], v[6:7]
	v_add_f64 v[4:5], v[8:9], v[4:5]
	v_add_f64 v[2:3], v[2:3], v[26:27]
	s_delay_alu instid0(VALU_DEP_4) | instskip(NEXT) | instid1(VALU_DEP_4)
	v_fma_f64 v[12:13], v[100:101], s[12:13], -v[10:11]
	v_add_f64 v[6:7], v[6:7], v[14:15]
	v_fma_f64 v[8:9], v[100:101], s[12:13], v[10:11]
	v_fma_f64 v[10:11], v[46:47], s[24:25], v[114:115]
	v_mul_f64 v[14:15], v[104:105], s[34:35]
	v_add_f64 v[2:3], v[12:13], v[2:3]
	v_mul_f64 v[12:13], v[84:85], s[38:39]
	v_add_f64 v[6:7], v[8:9], v[6:7]
	s_delay_alu instid0(VALU_DEP_2) | instskip(SKIP_2) | instid1(VALU_DEP_3)
	v_fma_f64 v[24:25], v[88:89], s[22:23], v[12:13]
	v_fma_f64 v[8:9], v[88:89], s[22:23], -v[12:13]
	v_mul_f64 v[12:13], v[102:103], s[34:35]
	v_add_f64 v[0:1], v[24:25], v[0:1]
	v_mul_f64 v[24:25], v[86:87], s[38:39]
	s_delay_alu instid0(VALU_DEP_4) | instskip(NEXT) | instid1(VALU_DEP_2)
	v_add_f64 v[4:5], v[8:9], v[4:5]
	v_fma_f64 v[26:27], v[90:91], s[22:23], -v[24:25]
	v_fma_f64 v[8:9], v[90:91], s[22:23], v[24:25]
	v_fma_f64 v[24:25], v[98:99], s[22:23], v[16:17]
	v_fma_f64 v[16:17], v[98:99], s[22:23], -v[16:17]
	s_delay_alu instid0(VALU_DEP_4) | instskip(SKIP_2) | instid1(VALU_DEP_2)
	v_add_f64 v[2:3], v[26:27], v[2:3]
	v_mul_f64 v[26:27], v[48:49], s[14:15]
	v_add_f64 v[6:7], v[8:9], v[6:7]
	v_fma_f64 v[34:35], v[52:53], s[20:21], v[26:27]
	v_fma_f64 v[8:9], v[52:53], s[20:21], -v[26:27]
	s_delay_alu instid0(VALU_DEP_2) | instskip(SKIP_1) | instid1(VALU_DEP_3)
	v_add_f64 v[0:1], v[34:35], v[0:1]
	v_mul_f64 v[34:35], v[50:51], s[14:15]
	v_add_f64 v[4:5], v[8:9], v[4:5]
	s_delay_alu instid0(VALU_DEP_2) | instskip(SKIP_1) | instid1(VALU_DEP_2)
	v_fma_f64 v[8:9], v[54:55], s[20:21], v[34:35]
	v_fma_f64 v[110:111], v[54:55], s[20:21], -v[34:35]
	v_add_f64 v[8:9], v[8:9], v[6:7]
	v_fma_f64 v[6:7], v[44:45], s[24:25], -v[112:113]
	s_delay_alu instid0(VALU_DEP_3) | instskip(SKIP_2) | instid1(VALU_DEP_4)
	v_add_f64 v[110:111], v[110:111], v[2:3]
	v_fma_f64 v[2:3], v[44:45], s[24:25], v[112:113]
	v_mul_f64 v[112:113], v[40:41], s[14:15]
	v_add_f64 v[6:7], v[6:7], v[4:5]
	v_add_f64 v[4:5], v[10:11], v[8:9]
	v_fma_f64 v[8:9], v[106:107], s[24:25], v[12:13]
	v_fma_f64 v[10:11], v[108:109], s[24:25], -v[14:15]
	v_fma_f64 v[12:13], v[106:107], s[24:25], -v[12:13]
	v_fma_f64 v[14:15], v[108:109], s[24:25], v[14:15]
	v_add_f64 v[2:3], v[2:3], v[0:1]
	v_fma_f64 v[0:1], v[46:47], s[24:25], -v[114:115]
	v_mul_f64 v[114:115], v[42:43], s[14:15]
	v_mul_f64 v[42:43], v[42:43], s[0:1]
	v_add_f64 v[8:9], v[8:9], v[28:29]
	v_add_f64 v[10:11], v[10:11], v[62:63]
	;; [unrolled: 1-line block ×4, first 2 shown]
	v_mul_f64 v[38:39], v[96:97], s[28:29]
	v_add_f64 v[0:1], v[0:1], v[110:111]
	v_fma_f64 v[18:19], v[46:47], s[20:21], v[114:115]
	v_add_f64 v[8:9], v[24:25], v[8:9]
	v_mul_f64 v[24:25], v[96:97], s[16:17]
	v_add_f64 v[12:13], v[16:17], v[12:13]
	s_delay_alu instid0(VALU_DEP_2) | instskip(SKIP_1) | instid1(VALU_DEP_2)
	v_fma_f64 v[26:27], v[100:101], s[22:23], -v[24:25]
	v_fma_f64 v[16:17], v[100:101], s[22:23], v[24:25]
	v_add_f64 v[10:11], v[26:27], v[10:11]
	v_mul_f64 v[26:27], v[84:85], s[40:41]
	s_delay_alu instid0(VALU_DEP_3) | instskip(NEXT) | instid1(VALU_DEP_2)
	v_add_f64 v[14:15], v[16:17], v[14:15]
	v_fma_f64 v[28:29], v[88:89], s[2:3], v[26:27]
	v_fma_f64 v[16:17], v[88:89], s[2:3], -v[26:27]
	s_delay_alu instid0(VALU_DEP_2) | instskip(SKIP_1) | instid1(VALU_DEP_3)
	v_add_f64 v[8:9], v[28:29], v[8:9]
	v_mul_f64 v[28:29], v[86:87], s[40:41]
	v_add_f64 v[12:13], v[16:17], v[12:13]
	s_delay_alu instid0(VALU_DEP_2) | instskip(SKIP_2) | instid1(VALU_DEP_3)
	v_fma_f64 v[34:35], v[90:91], s[2:3], -v[28:29]
	v_fma_f64 v[16:17], v[90:91], s[2:3], v[28:29]
	v_mul_f64 v[28:29], v[102:103], s[36:37]
	v_add_f64 v[10:11], v[34:35], v[10:11]
	v_mul_f64 v[34:35], v[48:49], s[28:29]
	s_delay_alu instid0(VALU_DEP_4) | instskip(NEXT) | instid1(VALU_DEP_2)
	v_add_f64 v[14:15], v[16:17], v[14:15]
	v_fma_f64 v[62:63], v[52:53], s[26:27], v[34:35]
	v_fma_f64 v[16:17], v[52:53], s[26:27], -v[34:35]
	v_mul_f64 v[34:35], v[94:95], s[28:29]
	s_delay_alu instid0(VALU_DEP_3) | instskip(SKIP_1) | instid1(VALU_DEP_4)
	v_add_f64 v[8:9], v[62:63], v[8:9]
	v_mul_f64 v[62:63], v[50:51], s[28:29]
	v_add_f64 v[12:13], v[16:17], v[12:13]
	s_delay_alu instid0(VALU_DEP_4) | instskip(SKIP_1) | instid1(VALU_DEP_4)
	v_fma_f64 v[24:25], v[98:99], s[26:27], v[34:35]
	v_fma_f64 v[34:35], v[98:99], s[26:27], -v[34:35]
	v_fma_f64 v[16:17], v[54:55], s[26:27], v[62:63]
	v_fma_f64 v[110:111], v[54:55], s[26:27], -v[62:63]
	v_mul_f64 v[62:63], v[84:85], s[18:19]
	s_delay_alu instid0(VALU_DEP_3) | instskip(SKIP_1) | instid1(VALU_DEP_4)
	v_add_f64 v[16:17], v[16:17], v[14:15]
	v_fma_f64 v[14:15], v[44:45], s[20:21], -v[112:113]
	v_add_f64 v[110:111], v[110:111], v[10:11]
	v_fma_f64 v[10:11], v[44:45], s[20:21], v[112:113]
	v_mul_f64 v[112:113], v[50:51], s[40:41]
	s_delay_alu instid0(VALU_DEP_4)
	v_add_f64 v[14:15], v[14:15], v[12:13]
	v_add_f64 v[12:13], v[18:19], v[16:17]
	v_fma_f64 v[16:17], v[106:107], s[12:13], v[28:29]
	v_add_f64 v[10:11], v[10:11], v[8:9]
	v_fma_f64 v[8:9], v[46:47], s[20:21], -v[114:115]
	v_mul_f64 v[114:115], v[40:41], s[38:39]
	v_fma_f64 v[28:29], v[106:107], s[12:13], -v[28:29]
	v_mul_f64 v[40:41], v[40:41], s[0:1]
	v_add_f64 v[16:17], v[16:17], v[30:31]
	v_mul_f64 v[30:31], v[104:105], s[36:37]
	v_add_f64 v[8:9], v[8:9], v[110:111]
	;; [unrolled: 2-line block ×4, first 2 shown]
	v_fma_f64 v[18:19], v[108:109], s[12:13], -v[30:31]
	v_fma_f64 v[24:25], v[100:101], s[26:27], -v[38:39]
	v_fma_f64 v[30:31], v[108:109], s[12:13], v[30:31]
	v_add_f64 v[28:29], v[34:35], v[28:29]
	v_fma_f64 v[34:35], v[100:101], s[26:27], v[38:39]
	v_fma_f64 v[38:39], v[46:47], s[22:23], v[116:117]
	v_add_f64 v[18:19], v[18:19], v[66:67]
	v_mul_f64 v[66:67], v[86:87], s[18:19]
	v_add_f64 v[30:31], v[30:31], v[56:57]
	v_fma_f64 v[56:57], v[46:47], s[12:13], -v[166:167]
	s_delay_alu instid0(VALU_DEP_4) | instskip(SKIP_1) | instid1(VALU_DEP_4)
	v_add_f64 v[18:19], v[24:25], v[18:19]
	v_fma_f64 v[24:25], v[88:89], s[24:25], v[62:63]
	v_add_f64 v[30:31], v[34:35], v[30:31]
	v_fma_f64 v[34:35], v[88:89], s[24:25], -v[62:63]
	v_fma_f64 v[62:63], v[98:99], s[2:3], v[122:123]
	s_delay_alu instid0(VALU_DEP_4) | instskip(SKIP_1) | instid1(VALU_DEP_4)
	v_add_f64 v[16:17], v[24:25], v[16:17]
	v_fma_f64 v[24:25], v[90:91], s[24:25], -v[66:67]
	v_add_f64 v[28:29], v[34:35], v[28:29]
	v_fma_f64 v[34:35], v[90:91], s[24:25], v[66:67]
	v_fma_f64 v[66:67], v[46:47], s[26:27], -v[144:145]
	s_delay_alu instid0(VALU_DEP_4) | instskip(SKIP_1) | instid1(VALU_DEP_4)
	v_add_f64 v[18:19], v[24:25], v[18:19]
	v_fma_f64 v[24:25], v[52:53], s[2:3], v[110:111]
	v_add_f64 v[30:31], v[34:35], v[30:31]
	v_fma_f64 v[34:35], v[52:53], s[2:3], -v[110:111]
	s_delay_alu instid0(VALU_DEP_3) | instskip(SKIP_1) | instid1(VALU_DEP_3)
	v_add_f64 v[16:17], v[24:25], v[16:17]
	v_fma_f64 v[24:25], v[54:55], s[2:3], -v[112:113]
	v_add_f64 v[28:29], v[34:35], v[28:29]
	v_fma_f64 v[34:35], v[54:55], s[2:3], v[112:113]
	s_delay_alu instid0(VALU_DEP_3) | instskip(SKIP_1) | instid1(VALU_DEP_3)
	v_add_f64 v[24:25], v[24:25], v[18:19]
	v_fma_f64 v[18:19], v[44:45], s[22:23], v[114:115]
	v_add_f64 v[34:35], v[34:35], v[30:31]
	v_fma_f64 v[30:31], v[44:45], s[22:23], -v[114:115]
	s_delay_alu instid0(VALU_DEP_3) | instskip(SKIP_1) | instid1(VALU_DEP_3)
	v_add_f64 v[18:19], v[18:19], v[16:17]
	v_fma_f64 v[16:17], v[46:47], s[22:23], -v[116:117]
	v_add_f64 v[30:31], v[30:31], v[28:29]
	v_add_f64 v[28:29], v[38:39], v[34:35]
	v_fma_f64 v[34:35], v[106:107], s[2:3], v[146:147]
	s_delay_alu instid0(VALU_DEP_4) | instskip(SKIP_1) | instid1(VALU_DEP_3)
	v_add_f64 v[16:17], v[16:17], v[24:25]
	v_fma_f64 v[24:25], v[106:107], s[20:21], -v[118:119]
	v_add_f64 v[32:33], v[34:35], v[32:33]
	s_delay_alu instid0(VALU_DEP_2) | instskip(SKIP_1) | instid1(VALU_DEP_1)
	v_add_f64 v[20:21], v[24:25], v[20:21]
	v_fma_f64 v[24:25], v[108:109], s[20:21], v[120:121]
	v_add_f64 v[22:23], v[24:25], v[22:23]
	v_fma_f64 v[24:25], v[98:99], s[2:3], -v[122:123]
	s_delay_alu instid0(VALU_DEP_1) | instskip(SKIP_1) | instid1(VALU_DEP_1)
	v_add_f64 v[20:21], v[24:25], v[20:21]
	v_fma_f64 v[24:25], v[100:101], s[2:3], v[124:125]
	v_add_f64 v[22:23], v[24:25], v[22:23]
	v_fma_f64 v[24:25], v[88:89], s[12:13], -v[126:127]
	s_delay_alu instid0(VALU_DEP_1) | instskip(SKIP_1) | instid1(VALU_DEP_1)
	;; [unrolled: 5-line block ×5, first 2 shown]
	v_add_f64 v[24:25], v[24:25], v[76:77]
	v_mul_f64 v[76:77], v[104:105], s[0:1]
	v_fma_f64 v[26:27], v[108:109], s[2:3], v[76:77]
	v_fma_f64 v[34:35], v[108:109], s[2:3], -v[76:77]
	s_delay_alu instid0(VALU_DEP_2) | instskip(SKIP_1) | instid1(VALU_DEP_3)
	v_add_f64 v[26:27], v[26:27], v[58:59]
	v_mul_f64 v[58:59], v[94:95], s[30:31]
	v_add_f64 v[34:35], v[34:35], v[70:71]
	v_fma_f64 v[70:71], v[106:107], s[22:23], v[68:69]
	v_fma_f64 v[68:69], v[106:107], s[22:23], -v[68:69]
	s_delay_alu instid0(VALU_DEP_4)
	v_fma_f64 v[148:149], v[98:99], s[20:21], -v[58:59]
	v_fma_f64 v[38:39], v[98:99], s[20:21], v[58:59]
	v_add_f64 v[58:59], v[92:93], v[176:177]
	v_add_f64 v[60:61], v[70:71], v[60:61]
	;; [unrolled: 1-line block ×4, first 2 shown]
	v_mul_f64 v[148:149], v[96:97], s[30:31]
	v_add_f64 v[32:33], v[38:39], v[32:33]
	v_add_f64 v[58:59], v[58:59], v[172:173]
	s_delay_alu instid0(VALU_DEP_3) | instskip(SKIP_1) | instid1(VALU_DEP_2)
	v_fma_f64 v[150:151], v[100:101], s[20:21], v[148:149]
	v_fma_f64 v[38:39], v[100:101], s[20:21], -v[148:149]
	v_add_f64 v[26:27], v[150:151], v[26:27]
	v_mul_f64 v[150:151], v[84:85], s[28:29]
	s_delay_alu instid0(VALU_DEP_3) | instskip(SKIP_1) | instid1(VALU_DEP_3)
	v_add_f64 v[34:35], v[38:39], v[34:35]
	v_mul_f64 v[84:85], v[84:85], s[14:15]
	v_fma_f64 v[152:153], v[88:89], s[26:27], -v[150:151]
	v_fma_f64 v[38:39], v[88:89], s[26:27], v[150:151]
	s_delay_alu instid0(VALU_DEP_2) | instskip(SKIP_1) | instid1(VALU_DEP_3)
	v_add_f64 v[24:25], v[152:153], v[24:25]
	v_mul_f64 v[152:153], v[86:87], s[28:29]
	v_add_f64 v[32:33], v[38:39], v[32:33]
	v_mul_f64 v[86:87], v[86:87], s[14:15]
	s_delay_alu instid0(VALU_DEP_3) | instskip(SKIP_1) | instid1(VALU_DEP_2)
	v_fma_f64 v[154:155], v[90:91], s[26:27], v[152:153]
	v_fma_f64 v[38:39], v[90:91], s[26:27], -v[152:153]
	v_add_f64 v[26:27], v[154:155], v[26:27]
	v_mul_f64 v[154:155], v[48:49], s[16:17]
	s_delay_alu instid0(VALU_DEP_3) | instskip(SKIP_1) | instid1(VALU_DEP_3)
	v_add_f64 v[34:35], v[38:39], v[34:35]
	v_mul_f64 v[48:49], v[48:49], s[8:9]
	v_fma_f64 v[156:157], v[52:53], s[22:23], -v[154:155]
	v_fma_f64 v[38:39], v[52:53], s[22:23], v[154:155]
	s_delay_alu instid0(VALU_DEP_2) | instskip(SKIP_1) | instid1(VALU_DEP_3)
	v_add_f64 v[24:25], v[156:157], v[24:25]
	v_mul_f64 v[156:157], v[50:51], s[16:17]
	v_add_f64 v[32:33], v[38:39], v[32:33]
	v_mul_f64 v[50:51], v[50:51], s[8:9]
	s_delay_alu instid0(VALU_DEP_3) | instskip(SKIP_1) | instid1(VALU_DEP_2)
	v_fma_f64 v[38:39], v[54:55], s[22:23], -v[156:157]
	v_fma_f64 v[158:159], v[54:55], s[22:23], v[156:157]
	v_add_f64 v[38:39], v[38:39], v[34:35]
	v_fma_f64 v[34:35], v[44:45], s[12:13], v[162:163]
	s_delay_alu instid0(VALU_DEP_3) | instskip(SKIP_1) | instid1(VALU_DEP_3)
	v_add_f64 v[158:159], v[158:159], v[26:27]
	v_fma_f64 v[26:27], v[44:45], s[12:13], -v[162:163]
	v_add_f64 v[34:35], v[34:35], v[32:33]
	v_add_f64 v[32:33], v[56:57], v[38:39]
	;; [unrolled: 1-line block ×3, first 2 shown]
	v_fma_f64 v[36:37], v[106:107], s[20:21], v[118:119]
	v_fma_f64 v[38:39], v[108:109], s[20:21], -v[120:121]
	v_add_f64 v[26:27], v[26:27], v[24:25]
	v_fma_f64 v[24:25], v[46:47], s[12:13], v[166:167]
	v_add_f64 v[56:57], v[56:57], v[174:175]
	v_add_f64 v[36:37], v[36:37], v[78:79]
	;; [unrolled: 1-line block ×3, first 2 shown]
	v_mul_f64 v[78:79], v[104:105], s[16:17]
	v_mul_f64 v[72:73], v[96:97], s[18:19]
	v_add_f64 v[24:25], v[24:25], v[158:159]
	v_add_f64 v[36:37], v[62:63], v[36:37]
	v_fma_f64 v[62:63], v[100:101], s[2:3], -v[124:125]
	v_fma_f64 v[92:93], v[108:109], s[22:23], -v[78:79]
	v_fma_f64 v[78:79], v[108:109], s[22:23], v[78:79]
	v_fma_f64 v[76:77], v[100:101], s[24:25], -v[72:73]
	v_fma_f64 v[72:73], v[100:101], s[24:25], v[72:73]
	v_add_f64 v[38:39], v[62:63], v[38:39]
	v_fma_f64 v[62:63], v[88:89], s[12:13], v[126:127]
	v_add_f64 v[70:71], v[78:79], v[82:83]
	v_fma_f64 v[78:79], v[52:53], s[12:13], v[48:49]
	v_fma_f64 v[48:49], v[52:53], s[12:13], -v[48:49]
	s_delay_alu instid0(VALU_DEP_4) | instskip(SKIP_1) | instid1(VALU_DEP_1)
	v_add_f64 v[36:37], v[62:63], v[36:37]
	v_fma_f64 v[62:63], v[90:91], s[12:13], -v[136:137]
	v_add_f64 v[38:39], v[62:63], v[38:39]
	v_fma_f64 v[62:63], v[52:53], s[24:25], v[138:139]
	v_add_f64 v[52:53], v[92:93], v[74:75]
	s_delay_alu instid0(VALU_DEP_2) | instskip(SKIP_1) | instid1(VALU_DEP_3)
	v_add_f64 v[36:37], v[62:63], v[36:37]
	v_fma_f64 v[62:63], v[54:55], s[24:25], -v[140:141]
	v_add_f64 v[52:53], v[76:77], v[52:53]
	s_delay_alu instid0(VALU_DEP_2) | instskip(SKIP_1) | instid1(VALU_DEP_1)
	v_add_f64 v[62:63], v[62:63], v[38:39]
	v_fma_f64 v[38:39], v[44:45], s[26:27], v[142:143]
	v_add_f64 v[38:39], v[38:39], v[36:37]
	s_delay_alu instid0(VALU_DEP_3)
	v_add_f64 v[36:37], v[66:67], v[62:63]
	v_mul_f64 v[62:63], v[94:95], s[18:19]
	v_fma_f64 v[94:95], v[88:89], s[20:21], v[84:85]
	v_fma_f64 v[84:85], v[88:89], s[20:21], -v[84:85]
	v_fma_f64 v[88:89], v[90:91], s[20:21], -v[86:87]
	v_fma_f64 v[86:87], v[90:91], s[20:21], v[86:87]
	v_fma_f64 v[66:67], v[98:99], s[24:25], v[62:63]
	v_fma_f64 v[62:63], v[98:99], s[24:25], -v[62:63]
	s_delay_alu instid0(VALU_DEP_2) | instskip(NEXT) | instid1(VALU_DEP_2)
	v_add_f64 v[60:61], v[66:67], v[60:61]
	v_add_f64 v[62:63], v[62:63], v[68:69]
	;; [unrolled: 1-line block ×3, first 2 shown]
	v_fma_f64 v[68:69], v[54:55], s[12:13], -v[50:51]
	v_fma_f64 v[50:51], v[54:55], s[12:13], v[50:51]
	v_add_f64 v[54:55], v[94:95], v[60:61]
	v_add_f64 v[60:61], v[84:85], v[62:63]
	;; [unrolled: 1-line block ×3, first 2 shown]
	v_fma_f64 v[66:67], v[44:45], s[2:3], v[40:41]
	v_fma_f64 v[40:41], v[44:45], s[2:3], -v[40:41]
	v_add_f64 v[44:45], v[88:89], v[52:53]
	v_add_f64 v[52:53], v[78:79], v[54:55]
	;; [unrolled: 1-line block ×3, first 2 shown]
	v_fma_f64 v[54:55], v[46:47], s[2:3], v[42:43]
	v_fma_f64 v[60:61], v[46:47], s[2:3], -v[42:43]
	v_add_f64 v[50:51], v[50:51], v[62:63]
	v_add_f64 v[44:45], v[68:69], v[44:45]
	v_add_f64 v[46:47], v[66:67], v[52:53]
	scratch_load_b32 v52, off, off offset:856 ; 4-byte Folded Reload
	v_add_f64 v[42:43], v[40:41], v[48:49]
	v_add_f64 v[48:49], v[58:59], v[168:169]
	;; [unrolled: 1-line block ×5, first 2 shown]
	s_waitcnt vmcnt(0)
	v_lshlrev_b32_e32 v52, 4, v52
	ds_store_b128 v52, v[20:23] offset:32
	ds_store_b128 v52, v[24:27] offset:48
	;; [unrolled: 1-line block ×11, first 2 shown]
	ds_store_b128 v52, v[48:51]
	ds_store_b128 v52, v[44:47] offset:192
.LBB0_13:
	s_or_b32 exec_lo, exec_lo, s33
	s_waitcnt lgkmcnt(0)
	s_barrier
	buffer_gl0_inv
	ds_load_b128 v[0:3], v160 offset:9360
	ds_load_b128 v[4:7], v160 offset:7488
	scratch_load_b128 v[10:13], off, off offset:456 ; 16-byte Folded Reload
	s_mov_b32 s0, 0xe8584caa
	s_mov_b32 s1, 0xbfebb67a
	s_mov_b32 s3, 0x3febb67a
	s_mov_b32 s2, s0
	s_mov_b32 s8, 0x134454ff
	s_mov_b32 s9, 0xbfee6f0e
	s_mov_b32 s13, 0x3fee6f0e
	s_mov_b32 s12, s8
	s_mov_b32 s14, 0x372fe950
	s_mov_b32 s15, 0x3fd3c6ef
	s_waitcnt vmcnt(0) lgkmcnt(1)
	v_mul_f64 v[8:9], v[12:13], v[2:3]
	s_delay_alu instid0(VALU_DEP_1) | instskip(SKIP_1) | instid1(VALU_DEP_1)
	v_fma_f64 v[16:17], v[10:11], v[0:1], v[8:9]
	v_mul_f64 v[0:1], v[12:13], v[0:1]
	v_fma_f64 v[18:19], v[10:11], v[2:3], -v[0:1]
	ds_load_b128 v[0:3], v160 offset:18720
	ds_load_b128 v[8:11], v160 offset:20592
	scratch_load_b128 v[22:25], off, off offset:440 ; 16-byte Folded Reload
	s_waitcnt vmcnt(0) lgkmcnt(1)
	v_mul_f64 v[12:13], v[24:25], v[2:3]
	s_delay_alu instid0(VALU_DEP_1) | instskip(SKIP_1) | instid1(VALU_DEP_1)
	v_fma_f64 v[20:21], v[22:23], v[0:1], v[12:13]
	v_mul_f64 v[0:1], v[24:25], v[0:1]
	v_fma_f64 v[22:23], v[22:23], v[2:3], -v[0:1]
	ds_load_b128 v[0:3], v160 offset:11232
	ds_load_b128 v[12:15], v160 offset:13104
	scratch_load_b128 v[30:33], off, off offset:536 ; 16-byte Folded Reload
	s_waitcnt vmcnt(0) lgkmcnt(1)
	v_mul_f64 v[24:25], v[32:33], v[2:3]
	s_delay_alu instid0(VALU_DEP_1) | instskip(SKIP_2) | instid1(VALU_DEP_1)
	v_fma_f64 v[28:29], v[30:31], v[0:1], v[24:25]
	scratch_load_b128 v[24:27], off, off offset:552 ; 16-byte Folded Reload
	v_mul_f64 v[0:1], v[32:33], v[0:1]
	v_fma_f64 v[30:31], v[30:31], v[2:3], -v[0:1]
	s_waitcnt vmcnt(0)
	v_mul_f64 v[0:1], v[26:27], v[10:11]
	s_delay_alu instid0(VALU_DEP_1) | instskip(SKIP_1) | instid1(VALU_DEP_1)
	v_fma_f64 v[32:33], v[24:25], v[8:9], v[0:1]
	v_mul_f64 v[0:1], v[26:27], v[8:9]
	v_fma_f64 v[34:35], v[24:25], v[10:11], -v[0:1]
	scratch_load_b128 v[8:11], off, off offset:584 ; 16-byte Folded Reload
	s_waitcnt vmcnt(0) lgkmcnt(0)
	v_mul_f64 v[0:1], v[10:11], v[14:15]
	s_delay_alu instid0(VALU_DEP_1) | instskip(SKIP_1) | instid1(VALU_DEP_1)
	v_fma_f64 v[36:37], v[8:9], v[12:13], v[0:1]
	v_mul_f64 v[0:1], v[10:11], v[12:13]
	v_fma_f64 v[38:39], v[8:9], v[14:15], -v[0:1]
	ds_load_b128 v[0:3], v160 offset:22464
	ds_load_b128 v[8:11], v160 offset:24336
	scratch_load_b128 v[24:27], off, off offset:600 ; 16-byte Folded Reload
	s_waitcnt vmcnt(0) lgkmcnt(1)
	v_mul_f64 v[12:13], v[26:27], v[2:3]
	s_delay_alu instid0(VALU_DEP_1) | instskip(SKIP_1) | instid1(VALU_DEP_1)
	v_fma_f64 v[40:41], v[24:25], v[0:1], v[12:13]
	v_mul_f64 v[0:1], v[26:27], v[0:1]
	v_fma_f64 v[42:43], v[24:25], v[2:3], -v[0:1]
	ds_load_b128 v[0:3], v160 offset:14976
	ds_load_b128 v[12:15], v160 offset:16848
	scratch_load_b128 v[46:49], off, off offset:636 ; 16-byte Folded Reload
	s_waitcnt vmcnt(0) lgkmcnt(1)
	v_mul_f64 v[24:25], v[48:49], v[2:3]
	s_delay_alu instid0(VALU_DEP_1) | instskip(SKIP_2) | instid1(VALU_DEP_1)
	v_fma_f64 v[44:45], v[46:47], v[0:1], v[24:25]
	scratch_load_b128 v[24:27], off, off offset:616 ; 16-byte Folded Reload
	v_mul_f64 v[0:1], v[48:49], v[0:1]
	v_fma_f64 v[46:47], v[46:47], v[2:3], -v[0:1]
	s_waitcnt vmcnt(0)
	v_mul_f64 v[0:1], v[26:27], v[10:11]
	s_delay_alu instid0(VALU_DEP_1) | instskip(SKIP_1) | instid1(VALU_DEP_1)
	v_fma_f64 v[48:49], v[24:25], v[8:9], v[0:1]
	v_mul_f64 v[0:1], v[26:27], v[8:9]
	v_fma_f64 v[50:51], v[24:25], v[10:11], -v[0:1]
	scratch_load_b128 v[8:11], off, off offset:668 ; 16-byte Folded Reload
	s_waitcnt vmcnt(0) lgkmcnt(0)
	v_mul_f64 v[0:1], v[10:11], v[14:15]
	s_delay_alu instid0(VALU_DEP_1)
	v_fma_f64 v[52:53], v[8:9], v[12:13], v[0:1]
	v_mul_f64 v[0:1], v[10:11], v[12:13]
	scratch_load_b128 v[10:13], off, off offset:652 ; 16-byte Folded Reload
	v_fma_f64 v[54:55], v[8:9], v[14:15], -v[0:1]
	ds_load_b128 v[0:3], v160 offset:26208
	s_waitcnt vmcnt(0) lgkmcnt(0)
	v_mul_f64 v[8:9], v[12:13], v[2:3]
	s_delay_alu instid0(VALU_DEP_1) | instskip(SKIP_2) | instid1(VALU_DEP_2)
	v_fma_f64 v[56:57], v[10:11], v[0:1], v[8:9]
	v_mul_f64 v[0:1], v[12:13], v[0:1]
	v_add_f64 v[12:13], v[16:17], v[20:21]
	v_fma_f64 v[58:59], v[10:11], v[2:3], -v[0:1]
	ds_load_b128 v[0:3], v160
	ds_load_b128 v[8:11], v160 offset:1872
	s_waitcnt lgkmcnt(1)
	v_fma_f64 v[14:15], v[12:13], -0.5, v[0:1]
	v_add_f64 v[12:13], v[18:19], v[22:23]
	v_add_f64 v[0:1], v[0:1], v[16:17]
	s_delay_alu instid0(VALU_DEP_2) | instskip(SKIP_2) | instid1(VALU_DEP_4)
	v_fma_f64 v[24:25], v[12:13], -0.5, v[2:3]
	v_add_f64 v[2:3], v[2:3], v[18:19]
	v_add_f64 v[18:19], v[18:19], -v[22:23]
	v_add_f64 v[0:1], v[0:1], v[20:21]
	v_add_f64 v[20:21], v[16:17], -v[20:21]
	s_delay_alu instid0(VALU_DEP_4) | instskip(NEXT) | instid1(VALU_DEP_4)
	v_add_f64 v[2:3], v[2:3], v[22:23]
	v_fma_f64 v[12:13], v[18:19], s[0:1], v[14:15]
	v_fma_f64 v[16:17], v[18:19], s[2:3], v[14:15]
	s_delay_alu instid0(VALU_DEP_4)
	v_fma_f64 v[14:15], v[20:21], s[2:3], v[24:25]
	v_fma_f64 v[18:19], v[20:21], s[0:1], v[24:25]
	ds_load_b128 v[20:23], v160 offset:3744
	ds_load_b128 v[24:27], v160 offset:5616
	s_waitcnt lgkmcnt(0)
	s_barrier
	buffer_gl0_inv
	scratch_load_b32 v60, off, off offset:632 ; 4-byte Folded Reload
	s_waitcnt vmcnt(0)
	ds_store_b128 v60, v[0:3]
	ds_store_b128 v60, v[12:15] offset:208
	ds_store_b128 v60, v[16:19] offset:416
	v_add_f64 v[0:1], v[28:29], v[32:33]
	v_add_f64 v[16:17], v[28:29], -v[32:33]
	s_delay_alu instid0(VALU_DEP_2) | instskip(SKIP_2) | instid1(VALU_DEP_2)
	v_fma_f64 v[12:13], v[0:1], -0.5, v[8:9]
	v_add_f64 v[0:1], v[30:31], v[34:35]
	v_add_f64 v[8:9], v[8:9], v[28:29]
	v_fma_f64 v[14:15], v[0:1], -0.5, v[10:11]
	v_add_f64 v[0:1], v[10:11], v[30:31]
	v_add_f64 v[10:11], v[30:31], -v[34:35]
	s_delay_alu instid0(VALU_DEP_2) | instskip(SKIP_1) | instid1(VALU_DEP_3)
	v_add_f64 v[2:3], v[0:1], v[34:35]
	v_add_f64 v[0:1], v[8:9], v[32:33]
	v_fma_f64 v[8:9], v[10:11], s[0:1], v[12:13]
	v_fma_f64 v[12:13], v[10:11], s[2:3], v[12:13]
	;; [unrolled: 1-line block ×4, first 2 shown]
	scratch_load_b32 v16, off, off offset:580 ; 4-byte Folded Reload
	s_waitcnt vmcnt(0)
	ds_store_b128 v16, v[0:3]
	ds_store_b128 v16, v[8:11] offset:208
	ds_store_b128 v16, v[12:15] offset:416
	v_add_f64 v[0:1], v[36:37], v[40:41]
	v_add_f64 v[8:9], v[20:21], v[36:37]
	v_add_f64 v[12:13], v[38:39], -v[42:43]
	v_add_f64 v[16:17], v[36:37], -v[40:41]
	s_delay_alu instid0(VALU_DEP_4) | instskip(SKIP_1) | instid1(VALU_DEP_1)
	v_fma_f64 v[10:11], v[0:1], -0.5, v[20:21]
	v_add_f64 v[0:1], v[38:39], v[42:43]
	v_fma_f64 v[14:15], v[0:1], -0.5, v[22:23]
	v_add_f64 v[0:1], v[22:23], v[38:39]
	s_delay_alu instid0(VALU_DEP_1)
	v_add_f64 v[2:3], v[0:1], v[42:43]
	v_add_f64 v[0:1], v[8:9], v[40:41]
	v_fma_f64 v[8:9], v[12:13], s[0:1], v[10:11]
	v_fma_f64 v[12:13], v[12:13], s[2:3], v[10:11]
	;; [unrolled: 1-line block ×4, first 2 shown]
	scratch_load_b32 v16, off, off offset:576 ; 4-byte Folded Reload
	s_waitcnt vmcnt(0)
	ds_store_b128 v16, v[0:3]
	ds_store_b128 v16, v[8:11] offset:208
	ds_store_b128 v16, v[12:15] offset:416
	v_add_f64 v[0:1], v[44:45], v[48:49]
	v_add_f64 v[8:9], v[24:25], v[44:45]
	v_add_f64 v[12:13], v[46:47], -v[50:51]
	v_add_f64 v[16:17], v[44:45], -v[48:49]
	s_delay_alu instid0(VALU_DEP_4) | instskip(SKIP_1) | instid1(VALU_DEP_1)
	v_fma_f64 v[10:11], v[0:1], -0.5, v[24:25]
	v_add_f64 v[0:1], v[46:47], v[50:51]
	v_fma_f64 v[14:15], v[0:1], -0.5, v[26:27]
	v_add_f64 v[0:1], v[26:27], v[46:47]
	s_delay_alu instid0(VALU_DEP_1)
	v_add_f64 v[2:3], v[0:1], v[50:51]
	v_add_f64 v[0:1], v[8:9], v[48:49]
	v_fma_f64 v[8:9], v[12:13], s[0:1], v[10:11]
	v_fma_f64 v[12:13], v[12:13], s[2:3], v[10:11]
	;; [unrolled: 1-line block ×4, first 2 shown]
	scratch_load_b32 v16, off, off offset:572 ; 4-byte Folded Reload
	s_waitcnt vmcnt(0)
	ds_store_b128 v16, v[0:3]
	ds_store_b128 v16, v[8:11] offset:208
	ds_store_b128 v16, v[12:15] offset:416
	v_add_f64 v[0:1], v[52:53], v[56:57]
	v_add_f64 v[12:13], v[52:53], -v[56:57]
	s_delay_alu instid0(VALU_DEP_2) | instskip(SKIP_2) | instid1(VALU_DEP_2)
	v_fma_f64 v[8:9], v[0:1], -0.5, v[4:5]
	v_add_f64 v[0:1], v[54:55], v[58:59]
	v_add_f64 v[4:5], v[4:5], v[52:53]
	v_fma_f64 v[10:11], v[0:1], -0.5, v[6:7]
	v_add_f64 v[0:1], v[6:7], v[54:55]
	v_add_f64 v[6:7], v[54:55], -v[58:59]
	s_delay_alu instid0(VALU_DEP_2) | instskip(SKIP_1) | instid1(VALU_DEP_3)
	v_add_f64 v[2:3], v[0:1], v[58:59]
	v_add_f64 v[0:1], v[4:5], v[56:57]
	v_fma_f64 v[4:5], v[6:7], s[0:1], v[8:9]
	v_fma_f64 v[8:9], v[6:7], s[2:3], v[8:9]
	v_fma_f64 v[6:7], v[12:13], s[2:3], v[10:11]
	v_fma_f64 v[10:11], v[12:13], s[0:1], v[10:11]
	scratch_load_b32 v12, off, off offset:568 ; 4-byte Folded Reload
	s_waitcnt vmcnt(0)
	ds_store_b128 v12, v[0:3]
	ds_store_b128 v12, v[4:7] offset:208
	ds_store_b128 v12, v[8:11] offset:416
	s_waitcnt lgkmcnt(0)
	s_barrier
	buffer_gl0_inv
	ds_load_b128 v[0:3], v160 offset:9360
	ds_load_b128 v[4:7], v160 offset:7488
	scratch_load_b128 v[10:13], off, off offset:472 ; 16-byte Folded Reload
	s_waitcnt vmcnt(0) lgkmcnt(1)
	v_mul_f64 v[8:9], v[12:13], v[2:3]
	s_delay_alu instid0(VALU_DEP_1) | instskip(SKIP_1) | instid1(VALU_DEP_1)
	v_fma_f64 v[16:17], v[10:11], v[0:1], v[8:9]
	v_mul_f64 v[0:1], v[12:13], v[0:1]
	v_fma_f64 v[18:19], v[10:11], v[2:3], -v[0:1]
	ds_load_b128 v[0:3], v160 offset:18720
	ds_load_b128 v[8:11], v160 offset:20592
	scratch_load_b128 v[22:25], off, off offset:488 ; 16-byte Folded Reload
	s_waitcnt vmcnt(0) lgkmcnt(1)
	v_mul_f64 v[12:13], v[24:25], v[2:3]
	s_delay_alu instid0(VALU_DEP_1) | instskip(SKIP_1) | instid1(VALU_DEP_1)
	v_fma_f64 v[20:21], v[22:23], v[0:1], v[12:13]
	v_mul_f64 v[0:1], v[24:25], v[0:1]
	v_fma_f64 v[22:23], v[22:23], v[2:3], -v[0:1]
	ds_load_b128 v[0:3], v160 offset:11232
	ds_load_b128 v[12:15], v160 offset:13104
	scratch_load_b128 v[30:33], off, off offset:800 ; 16-byte Folded Reload
	s_waitcnt vmcnt(0) lgkmcnt(1)
	v_mul_f64 v[24:25], v[32:33], v[2:3]
	s_delay_alu instid0(VALU_DEP_1) | instskip(SKIP_2) | instid1(VALU_DEP_1)
	v_fma_f64 v[28:29], v[30:31], v[0:1], v[24:25]
	scratch_load_b128 v[24:27], off, off offset:784 ; 16-byte Folded Reload
	v_mul_f64 v[0:1], v[32:33], v[0:1]
	v_fma_f64 v[30:31], v[30:31], v[2:3], -v[0:1]
	s_waitcnt vmcnt(0)
	v_mul_f64 v[0:1], v[26:27], v[10:11]
	s_delay_alu instid0(VALU_DEP_1) | instskip(SKIP_1) | instid1(VALU_DEP_1)
	v_fma_f64 v[32:33], v[24:25], v[8:9], v[0:1]
	v_mul_f64 v[0:1], v[26:27], v[8:9]
	v_fma_f64 v[34:35], v[24:25], v[10:11], -v[0:1]
	s_waitcnt lgkmcnt(0)
	v_mul_f64 v[0:1], v[198:199], v[14:15]
	s_delay_alu instid0(VALU_DEP_1) | instskip(SKIP_1) | instid1(VALU_DEP_1)
	v_fma_f64 v[36:37], v[196:197], v[12:13], v[0:1]
	v_mul_f64 v[0:1], v[198:199], v[12:13]
	v_fma_f64 v[38:39], v[196:197], v[14:15], -v[0:1]
	ds_load_b128 v[0:3], v160 offset:22464
	ds_load_b128 v[8:11], v160 offset:24336
	scratch_load_b128 v[24:27], off, off offset:816 ; 16-byte Folded Reload
	s_waitcnt vmcnt(0) lgkmcnt(1)
	v_mul_f64 v[12:13], v[26:27], v[2:3]
	s_delay_alu instid0(VALU_DEP_1) | instskip(SKIP_1) | instid1(VALU_DEP_1)
	v_fma_f64 v[40:41], v[24:25], v[0:1], v[12:13]
	v_mul_f64 v[0:1], v[26:27], v[0:1]
	v_fma_f64 v[42:43], v[24:25], v[2:3], -v[0:1]
	ds_load_b128 v[0:3], v160 offset:14976
	ds_load_b128 v[12:15], v160 offset:16848
	s_waitcnt lgkmcnt(1)
	v_mul_f64 v[24:25], v[206:207], v[2:3]
	s_delay_alu instid0(VALU_DEP_1) | instskip(SKIP_1) | instid1(VALU_DEP_1)
	v_fma_f64 v[44:45], v[204:205], v[0:1], v[24:25]
	v_mul_f64 v[0:1], v[206:207], v[0:1]
	v_fma_f64 v[46:47], v[204:205], v[2:3], -v[0:1]
	v_mul_f64 v[0:1], v[202:203], v[10:11]
	s_delay_alu instid0(VALU_DEP_1) | instskip(SKIP_1) | instid1(VALU_DEP_1)
	v_fma_f64 v[48:49], v[200:201], v[8:9], v[0:1]
	v_mul_f64 v[0:1], v[202:203], v[8:9]
	v_fma_f64 v[50:51], v[200:201], v[10:11], -v[0:1]
	s_waitcnt lgkmcnt(0)
	v_mul_f64 v[0:1], v[226:227], v[14:15]
	s_delay_alu instid0(VALU_DEP_1) | instskip(SKIP_2) | instid1(VALU_DEP_2)
	v_fma_f64 v[52:53], v[224:225], v[12:13], v[0:1]
	v_mul_f64 v[0:1], v[226:227], v[12:13]
	v_add_f64 v[12:13], v[16:17], v[20:21]
	v_fma_f64 v[54:55], v[224:225], v[14:15], -v[0:1]
	ds_load_b128 v[0:3], v160 offset:26208
	s_waitcnt lgkmcnt(0)
	v_mul_f64 v[8:9], v[218:219], v[2:3]
	s_delay_alu instid0(VALU_DEP_1) | instskip(SKIP_1) | instid1(VALU_DEP_1)
	v_fma_f64 v[56:57], v[216:217], v[0:1], v[8:9]
	v_mul_f64 v[0:1], v[218:219], v[0:1]
	v_fma_f64 v[58:59], v[216:217], v[2:3], -v[0:1]
	ds_load_b128 v[0:3], v160
	ds_load_b128 v[8:11], v160 offset:1872
	s_waitcnt lgkmcnt(1)
	v_fma_f64 v[14:15], v[12:13], -0.5, v[0:1]
	v_add_f64 v[12:13], v[18:19], v[22:23]
	v_add_f64 v[0:1], v[0:1], v[16:17]
	s_delay_alu instid0(VALU_DEP_2) | instskip(SKIP_2) | instid1(VALU_DEP_4)
	v_fma_f64 v[24:25], v[12:13], -0.5, v[2:3]
	v_add_f64 v[2:3], v[2:3], v[18:19]
	v_add_f64 v[18:19], v[18:19], -v[22:23]
	v_add_f64 v[0:1], v[0:1], v[20:21]
	v_add_f64 v[20:21], v[16:17], -v[20:21]
	s_delay_alu instid0(VALU_DEP_4) | instskip(NEXT) | instid1(VALU_DEP_4)
	v_add_f64 v[2:3], v[2:3], v[22:23]
	v_fma_f64 v[12:13], v[18:19], s[0:1], v[14:15]
	v_fma_f64 v[16:17], v[18:19], s[2:3], v[14:15]
	s_delay_alu instid0(VALU_DEP_4)
	v_fma_f64 v[14:15], v[20:21], s[2:3], v[24:25]
	v_fma_f64 v[18:19], v[20:21], s[0:1], v[24:25]
	ds_load_b128 v[20:23], v160 offset:3744
	ds_load_b128 v[24:27], v160 offset:5616
	s_waitcnt lgkmcnt(0)
	s_barrier
	buffer_gl0_inv
	scratch_load_b32 v60, off, off offset:844 ; 4-byte Folded Reload
	s_waitcnt vmcnt(0)
	ds_store_b128 v60, v[0:3]
	ds_store_b128 v60, v[12:15] offset:624
	ds_store_b128 v60, v[16:19] offset:1248
	v_add_f64 v[0:1], v[28:29], v[32:33]
	v_add_f64 v[16:17], v[28:29], -v[32:33]
	s_delay_alu instid0(VALU_DEP_2) | instskip(SKIP_2) | instid1(VALU_DEP_2)
	v_fma_f64 v[12:13], v[0:1], -0.5, v[8:9]
	v_add_f64 v[0:1], v[30:31], v[34:35]
	v_add_f64 v[8:9], v[8:9], v[28:29]
	v_fma_f64 v[14:15], v[0:1], -0.5, v[10:11]
	v_add_f64 v[0:1], v[10:11], v[30:31]
	v_add_f64 v[10:11], v[30:31], -v[34:35]
	s_delay_alu instid0(VALU_DEP_2) | instskip(SKIP_1) | instid1(VALU_DEP_3)
	v_add_f64 v[2:3], v[0:1], v[34:35]
	v_add_f64 v[0:1], v[8:9], v[32:33]
	v_fma_f64 v[8:9], v[10:11], s[0:1], v[12:13]
	v_fma_f64 v[12:13], v[10:11], s[2:3], v[12:13]
	;; [unrolled: 1-line block ×4, first 2 shown]
	scratch_load_b32 v16, off, off offset:840 ; 4-byte Folded Reload
	s_waitcnt vmcnt(0)
	ds_store_b128 v16, v[0:3]
	ds_store_b128 v16, v[8:11] offset:624
	ds_store_b128 v16, v[12:15] offset:1248
	v_add_f64 v[0:1], v[36:37], v[40:41]
	v_add_f64 v[8:9], v[20:21], v[36:37]
	v_add_f64 v[12:13], v[38:39], -v[42:43]
	v_add_f64 v[16:17], v[36:37], -v[40:41]
	s_delay_alu instid0(VALU_DEP_4) | instskip(SKIP_1) | instid1(VALU_DEP_1)
	v_fma_f64 v[10:11], v[0:1], -0.5, v[20:21]
	v_add_f64 v[0:1], v[38:39], v[42:43]
	v_fma_f64 v[14:15], v[0:1], -0.5, v[22:23]
	v_add_f64 v[0:1], v[22:23], v[38:39]
	s_delay_alu instid0(VALU_DEP_1)
	v_add_f64 v[2:3], v[0:1], v[42:43]
	v_add_f64 v[0:1], v[8:9], v[40:41]
	v_fma_f64 v[8:9], v[12:13], s[0:1], v[10:11]
	v_fma_f64 v[12:13], v[12:13], s[2:3], v[10:11]
	;; [unrolled: 1-line block ×4, first 2 shown]
	scratch_load_b32 v16, off, off offset:836 ; 4-byte Folded Reload
	s_waitcnt vmcnt(0)
	ds_store_b128 v16, v[0:3]
	ds_store_b128 v16, v[8:11] offset:624
	ds_store_b128 v16, v[12:15] offset:1248
	v_add_f64 v[0:1], v[44:45], v[48:49]
	v_add_f64 v[8:9], v[24:25], v[44:45]
	v_add_f64 v[12:13], v[46:47], -v[50:51]
	v_add_f64 v[16:17], v[44:45], -v[48:49]
	s_delay_alu instid0(VALU_DEP_4) | instskip(SKIP_1) | instid1(VALU_DEP_1)
	v_fma_f64 v[10:11], v[0:1], -0.5, v[24:25]
	v_add_f64 v[0:1], v[46:47], v[50:51]
	v_fma_f64 v[14:15], v[0:1], -0.5, v[26:27]
	v_add_f64 v[0:1], v[26:27], v[46:47]
	s_delay_alu instid0(VALU_DEP_1)
	v_add_f64 v[2:3], v[0:1], v[50:51]
	v_add_f64 v[0:1], v[8:9], v[48:49]
	v_fma_f64 v[8:9], v[12:13], s[0:1], v[10:11]
	v_fma_f64 v[12:13], v[12:13], s[2:3], v[10:11]
	;; [unrolled: 1-line block ×4, first 2 shown]
	scratch_load_b32 v16, off, off offset:832 ; 4-byte Folded Reload
	s_waitcnt vmcnt(0)
	ds_store_b128 v16, v[0:3]
	ds_store_b128 v16, v[8:11] offset:624
	ds_store_b128 v16, v[12:15] offset:1248
	v_add_f64 v[0:1], v[52:53], v[56:57]
	v_add_f64 v[12:13], v[52:53], -v[56:57]
	s_delay_alu instid0(VALU_DEP_2) | instskip(SKIP_2) | instid1(VALU_DEP_2)
	v_fma_f64 v[8:9], v[0:1], -0.5, v[4:5]
	v_add_f64 v[0:1], v[54:55], v[58:59]
	v_add_f64 v[4:5], v[4:5], v[52:53]
	v_fma_f64 v[10:11], v[0:1], -0.5, v[6:7]
	v_add_f64 v[0:1], v[6:7], v[54:55]
	v_add_f64 v[6:7], v[54:55], -v[58:59]
	s_delay_alu instid0(VALU_DEP_2) | instskip(SKIP_1) | instid1(VALU_DEP_3)
	v_add_f64 v[2:3], v[0:1], v[58:59]
	v_add_f64 v[0:1], v[4:5], v[56:57]
	v_fma_f64 v[4:5], v[6:7], s[0:1], v[8:9]
	v_fma_f64 v[8:9], v[6:7], s[2:3], v[8:9]
	;; [unrolled: 1-line block ×4, first 2 shown]
	scratch_load_b32 v12, off, off offset:780 ; 4-byte Folded Reload
	s_waitcnt vmcnt(0)
	ds_store_b128 v12, v[0:3]
	ds_store_b128 v12, v[4:7] offset:624
	ds_store_b128 v12, v[8:11] offset:1248
	s_waitcnt lgkmcnt(0)
	s_barrier
	buffer_gl0_inv
	ds_load_b128 v[0:3], v160 offset:9360
	ds_load_b128 v[4:7], v160 offset:7488
	s_waitcnt lgkmcnt(1)
	v_mul_f64 v[8:9], v[130:131], v[2:3]
	s_delay_alu instid0(VALU_DEP_1) | instskip(SKIP_1) | instid1(VALU_DEP_1)
	v_fma_f64 v[16:17], v[128:129], v[0:1], v[8:9]
	v_mul_f64 v[0:1], v[130:131], v[0:1]
	v_fma_f64 v[18:19], v[128:129], v[2:3], -v[0:1]
	ds_load_b128 v[0:3], v160 offset:11232
	ds_load_b128 v[8:11], v160 offset:13104
	s_waitcnt lgkmcnt(1)
	v_mul_f64 v[12:13], v[130:131], v[2:3]
	s_delay_alu instid0(VALU_DEP_1) | instskip(SKIP_1) | instid1(VALU_DEP_1)
	v_fma_f64 v[20:21], v[128:129], v[0:1], v[12:13]
	v_mul_f64 v[0:1], v[130:131], v[0:1]
	v_fma_f64 v[22:23], v[128:129], v[2:3], -v[0:1]
	ds_load_b128 v[0:3], v160 offset:18720
	ds_load_b128 v[12:15], v160 offset:20592
	s_waitcnt lgkmcnt(1)
	v_mul_f64 v[24:25], v[134:135], v[2:3]
	s_delay_alu instid0(VALU_DEP_1) | instskip(SKIP_1) | instid1(VALU_DEP_1)
	v_fma_f64 v[24:25], v[132:133], v[0:1], v[24:25]
	v_mul_f64 v[0:1], v[134:135], v[0:1]
	v_fma_f64 v[26:27], v[132:133], v[2:3], -v[0:1]
	s_waitcnt lgkmcnt(0)
	v_mul_f64 v[0:1], v[134:135], v[14:15]
	s_delay_alu instid0(VALU_DEP_1) | instskip(SKIP_1) | instid1(VALU_DEP_1)
	v_fma_f64 v[28:29], v[132:133], v[12:13], v[0:1]
	v_mul_f64 v[0:1], v[134:135], v[12:13]
	v_fma_f64 v[30:31], v[132:133], v[14:15], -v[0:1]
	scratch_load_b128 v[12:15], off, off offset:700 ; 16-byte Folded Reload
	s_waitcnt vmcnt(0)
	v_mul_f64 v[0:1], v[14:15], v[10:11]
	s_delay_alu instid0(VALU_DEP_1) | instskip(SKIP_1) | instid1(VALU_DEP_1)
	v_fma_f64 v[36:37], v[12:13], v[8:9], v[0:1]
	v_mul_f64 v[0:1], v[14:15], v[8:9]
	v_fma_f64 v[38:39], v[12:13], v[10:11], -v[0:1]
	ds_load_b128 v[0:3], v160 offset:22464
	ds_load_b128 v[8:11], v160 offset:24336
	scratch_load_b128 v[32:35], off, off offset:684 ; 16-byte Folded Reload
	s_waitcnt vmcnt(0) lgkmcnt(1)
	v_mul_f64 v[12:13], v[34:35], v[2:3]
	s_delay_alu instid0(VALU_DEP_1) | instskip(SKIP_1) | instid1(VALU_DEP_2)
	v_fma_f64 v[40:41], v[32:33], v[0:1], v[12:13]
	v_mul_f64 v[0:1], v[34:35], v[0:1]
	v_add_f64 v[60:61], v[36:37], v[40:41]
	s_delay_alu instid0(VALU_DEP_2)
	v_fma_f64 v[42:43], v[32:33], v[2:3], -v[0:1]
	ds_load_b128 v[0:3], v160 offset:14976
	ds_load_b128 v[12:15], v160 offset:16848
	scratch_load_b128 v[46:49], off, off offset:732 ; 16-byte Folded Reload
	v_add_f64 v[62:63], v[38:39], v[42:43]
	v_add_f64 v[66:67], v[38:39], -v[42:43]
	s_waitcnt vmcnt(0) lgkmcnt(1)
	v_mul_f64 v[32:33], v[48:49], v[2:3]
	s_delay_alu instid0(VALU_DEP_1) | instskip(SKIP_2) | instid1(VALU_DEP_1)
	v_fma_f64 v[44:45], v[46:47], v[0:1], v[32:33]
	scratch_load_b128 v[32:35], off, off offset:716 ; 16-byte Folded Reload
	v_mul_f64 v[0:1], v[48:49], v[0:1]
	v_fma_f64 v[46:47], v[46:47], v[2:3], -v[0:1]
	s_waitcnt vmcnt(0)
	v_mul_f64 v[0:1], v[34:35], v[10:11]
	s_delay_alu instid0(VALU_DEP_1) | instskip(SKIP_1) | instid1(VALU_DEP_1)
	v_fma_f64 v[48:49], v[32:33], v[8:9], v[0:1]
	v_mul_f64 v[0:1], v[34:35], v[8:9]
	v_fma_f64 v[50:51], v[32:33], v[10:11], -v[0:1]
	scratch_load_b128 v[8:11], off, off offset:764 ; 16-byte Folded Reload
	s_waitcnt vmcnt(0) lgkmcnt(0)
	v_mul_f64 v[0:1], v[10:11], v[14:15]
	s_delay_alu instid0(VALU_DEP_1)
	v_fma_f64 v[52:53], v[8:9], v[12:13], v[0:1]
	v_mul_f64 v[0:1], v[10:11], v[12:13]
	scratch_load_b128 v[10:13], off, off offset:748 ; 16-byte Folded Reload
	v_fma_f64 v[54:55], v[8:9], v[14:15], -v[0:1]
	ds_load_b128 v[0:3], v160 offset:26208
	s_waitcnt vmcnt(0) lgkmcnt(0)
	v_mul_f64 v[8:9], v[12:13], v[2:3]
	s_delay_alu instid0(VALU_DEP_1) | instskip(SKIP_2) | instid1(VALU_DEP_2)
	v_fma_f64 v[56:57], v[10:11], v[0:1], v[8:9]
	v_mul_f64 v[0:1], v[12:13], v[0:1]
	v_add_f64 v[12:13], v[16:17], v[24:25]
	v_fma_f64 v[58:59], v[10:11], v[2:3], -v[0:1]
	ds_load_b128 v[0:3], v160
	ds_load_b128 v[8:11], v160 offset:1872
	s_waitcnt lgkmcnt(1)
	v_fma_f64 v[14:15], v[12:13], -0.5, v[0:1]
	v_add_f64 v[12:13], v[18:19], v[26:27]
	v_add_f64 v[0:1], v[0:1], v[16:17]
	s_delay_alu instid0(VALU_DEP_2) | instskip(SKIP_2) | instid1(VALU_DEP_4)
	v_fma_f64 v[32:33], v[12:13], -0.5, v[2:3]
	v_add_f64 v[2:3], v[2:3], v[18:19]
	v_add_f64 v[18:19], v[18:19], -v[26:27]
	v_add_f64 v[0:1], v[0:1], v[24:25]
	v_add_f64 v[24:25], v[16:17], -v[24:25]
	s_delay_alu instid0(VALU_DEP_4) | instskip(NEXT) | instid1(VALU_DEP_4)
	v_add_f64 v[2:3], v[2:3], v[26:27]
	v_fma_f64 v[12:13], v[18:19], s[0:1], v[14:15]
	v_fma_f64 v[16:17], v[18:19], s[2:3], v[14:15]
	s_delay_alu instid0(VALU_DEP_4) | instskip(SKIP_4) | instid1(VALU_DEP_2)
	v_fma_f64 v[14:15], v[24:25], s[2:3], v[32:33]
	v_fma_f64 v[18:19], v[24:25], s[0:1], v[32:33]
	v_add_f64 v[24:25], v[20:21], v[28:29]
	v_add_f64 v[26:27], v[22:23], v[30:31]
	s_waitcnt lgkmcnt(0)
	v_fma_f64 v[24:25], v[24:25], -0.5, v[8:9]
	v_add_f64 v[8:9], v[8:9], v[20:21]
	s_delay_alu instid0(VALU_DEP_3) | instskip(SKIP_2) | instid1(VALU_DEP_4)
	v_fma_f64 v[26:27], v[26:27], -0.5, v[10:11]
	v_add_f64 v[10:11], v[10:11], v[22:23]
	v_add_f64 v[22:23], v[22:23], -v[30:31]
	v_add_f64 v[8:9], v[8:9], v[28:29]
	v_add_f64 v[28:29], v[20:21], -v[28:29]
	s_delay_alu instid0(VALU_DEP_4) | instskip(NEXT) | instid1(VALU_DEP_4)
	v_add_f64 v[10:11], v[10:11], v[30:31]
	v_fma_f64 v[20:21], v[22:23], s[0:1], v[24:25]
	v_fma_f64 v[24:25], v[22:23], s[2:3], v[24:25]
	s_delay_alu instid0(VALU_DEP_4)
	v_fma_f64 v[22:23], v[28:29], s[2:3], v[26:27]
	v_fma_f64 v[26:27], v[28:29], s[0:1], v[26:27]
	ds_load_b128 v[28:31], v160 offset:3744
	ds_load_b128 v[32:35], v160 offset:5616
	s_waitcnt lgkmcnt(0)
	s_barrier
	buffer_gl0_inv
	v_fma_f64 v[62:63], v[62:63], -0.5, v[30:31]
	v_add_f64 v[30:31], v[30:31], v[38:39]
	v_fma_f64 v[60:61], v[60:61], -0.5, v[28:29]
	v_add_f64 v[28:29], v[28:29], v[36:37]
	s_delay_alu instid0(VALU_DEP_3) | instskip(SKIP_1) | instid1(VALU_DEP_3)
	v_add_f64 v[30:31], v[30:31], v[42:43]
	v_add_f64 v[42:43], v[36:37], -v[40:41]
	v_add_f64 v[28:29], v[28:29], v[40:41]
	v_fma_f64 v[36:37], v[66:67], s[0:1], v[60:61]
	v_fma_f64 v[40:41], v[66:67], s[2:3], v[60:61]
	s_delay_alu instid0(VALU_DEP_4)
	v_fma_f64 v[38:39], v[42:43], s[2:3], v[62:63]
	ds_store_b128 v160, v[0:3]
	ds_store_b128 v160, v[12:15] offset:1872
	ds_store_b128 v160, v[8:11] offset:5616
	ds_store_b128 v160, v[16:19] offset:3744
	ds_store_b128 v160, v[20:23] offset:7488
	ds_store_b128 v160, v[24:27] offset:9360
	ds_store_b128 v165, v[28:31] offset:11232
	ds_store_b128 v165, v[36:39] offset:13104
	v_add_f64 v[0:1], v[34:35], v[46:47]
	v_add_f64 v[8:9], v[32:33], v[44:45]
	v_add_f64 v[12:13], v[46:47], -v[50:51]
	v_add_f64 v[16:17], v[44:45], -v[48:49]
	v_fma_f64 v[42:43], v[42:43], s[0:1], v[62:63]
	v_add_f64 v[2:3], v[0:1], v[50:51]
	v_add_f64 v[0:1], v[8:9], v[48:49]
	;; [unrolled: 1-line block ×3, first 2 shown]
	ds_store_b128 v165, v[40:43] offset:14976
	v_fma_f64 v[10:11], v[8:9], -0.5, v[32:33]
	v_add_f64 v[8:9], v[46:47], v[50:51]
	s_delay_alu instid0(VALU_DEP_1) | instskip(NEXT) | instid1(VALU_DEP_3)
	v_fma_f64 v[14:15], v[8:9], -0.5, v[34:35]
	v_fma_f64 v[8:9], v[12:13], s[0:1], v[10:11]
	v_fma_f64 v[12:13], v[12:13], s[2:3], v[10:11]
	s_delay_alu instid0(VALU_DEP_3)
	v_fma_f64 v[10:11], v[16:17], s[2:3], v[14:15]
	v_fma_f64 v[14:15], v[16:17], s[0:1], v[14:15]
	scratch_load_b32 v16, off, off offset:852 ; 4-byte Folded Reload
	s_waitcnt vmcnt(0)
	ds_store_b128 v16, v[0:3] offset:16848
	ds_store_b128 v16, v[8:11] offset:18720
	;; [unrolled: 1-line block ×3, first 2 shown]
	v_add_f64 v[0:1], v[52:53], v[56:57]
	v_add_f64 v[12:13], v[52:53], -v[56:57]
	s_delay_alu instid0(VALU_DEP_2) | instskip(SKIP_2) | instid1(VALU_DEP_2)
	v_fma_f64 v[8:9], v[0:1], -0.5, v[4:5]
	v_add_f64 v[0:1], v[54:55], v[58:59]
	v_add_f64 v[4:5], v[4:5], v[52:53]
	v_fma_f64 v[10:11], v[0:1], -0.5, v[6:7]
	v_add_f64 v[0:1], v[6:7], v[54:55]
	v_add_f64 v[6:7], v[54:55], -v[58:59]
	s_delay_alu instid0(VALU_DEP_2) | instskip(SKIP_1) | instid1(VALU_DEP_3)
	v_add_f64 v[2:3], v[0:1], v[58:59]
	v_add_f64 v[0:1], v[4:5], v[56:57]
	v_fma_f64 v[4:5], v[6:7], s[0:1], v[8:9]
	v_fma_f64 v[8:9], v[6:7], s[2:3], v[8:9]
	;; [unrolled: 1-line block ×4, first 2 shown]
	scratch_load_b32 v12, off, off offset:848 ; 4-byte Folded Reload
	s_mov_b32 s0, 0x4755a5e
	s_mov_b32 s1, 0xbfe2cf23
	;; [unrolled: 1-line block ×4, first 2 shown]
	s_waitcnt vmcnt(0)
	ds_store_b128 v12, v[0:3] offset:22464
	ds_store_b128 v12, v[4:7] offset:24336
	;; [unrolled: 1-line block ×3, first 2 shown]
	s_waitcnt lgkmcnt(0)
	s_barrier
	buffer_gl0_inv
	ds_load_b128 v[0:3], v160 offset:5616
	ds_load_b128 v[4:7], v160 offset:3744
	scratch_load_b128 v[10:13], off, off offset:504 ; 16-byte Folded Reload
	s_waitcnt vmcnt(0) lgkmcnt(1)
	v_mul_f64 v[8:9], v[12:13], v[2:3]
	s_delay_alu instid0(VALU_DEP_1) | instskip(SKIP_1) | instid1(VALU_DEP_1)
	v_fma_f64 v[24:25], v[10:11], v[0:1], v[8:9]
	v_mul_f64 v[0:1], v[12:13], v[0:1]
	v_fma_f64 v[26:27], v[10:11], v[2:3], -v[0:1]
	ds_load_b128 v[0:3], v160 offset:11232
	ds_load_b128 v[8:11], v160 offset:13104
	s_waitcnt lgkmcnt(1)
	v_mul_f64 v[12:13], v[222:223], v[2:3]
	s_delay_alu instid0(VALU_DEP_1) | instskip(SKIP_1) | instid1(VALU_DEP_1)
	v_fma_f64 v[28:29], v[220:221], v[0:1], v[12:13]
	v_mul_f64 v[0:1], v[222:223], v[0:1]
	v_fma_f64 v[30:31], v[220:221], v[2:3], -v[0:1]
	ds_load_b128 v[0:3], v160 offset:16848
	ds_load_b128 v[12:15], v160 offset:14976
	s_waitcnt lgkmcnt(1)
	v_mul_f64 v[16:17], v[210:211], v[2:3]
	s_delay_alu instid0(VALU_DEP_1) | instskip(SKIP_1) | instid1(VALU_DEP_2)
	v_fma_f64 v[32:33], v[208:209], v[0:1], v[16:17]
	v_mul_f64 v[0:1], v[210:211], v[0:1]
	v_add_f64 v[80:81], v[28:29], -v[32:33]
	s_delay_alu instid0(VALU_DEP_2)
	v_fma_f64 v[34:35], v[208:209], v[2:3], -v[0:1]
	ds_load_b128 v[0:3], v160 offset:22464
	ds_load_b128 v[16:19], v160 offset:24336
	scratch_load_b128 v[38:41], off, off offset:520 ; 16-byte Folded Reload
	v_add_f64 v[76:77], v[30:31], -v[34:35]
	s_waitcnt vmcnt(0) lgkmcnt(1)
	v_mul_f64 v[20:21], v[40:41], v[2:3]
	s_delay_alu instid0(VALU_DEP_1) | instskip(SKIP_1) | instid1(VALU_DEP_2)
	v_fma_f64 v[36:37], v[38:39], v[0:1], v[20:21]
	v_mul_f64 v[0:1], v[40:41], v[0:1]
	v_add_f64 v[78:79], v[24:25], -v[36:37]
	s_delay_alu instid0(VALU_DEP_2)
	v_fma_f64 v[38:39], v[38:39], v[2:3], -v[0:1]
	ds_load_b128 v[0:3], v160 offset:7488
	ds_load_b128 v[20:23], v160 offset:9360
	s_waitcnt lgkmcnt(1)
	v_mul_f64 v[40:41], v[234:235], v[2:3]
	v_add_f64 v[74:75], v[26:27], -v[38:39]
	s_delay_alu instid0(VALU_DEP_2) | instskip(SKIP_1) | instid1(VALU_DEP_1)
	v_fma_f64 v[40:41], v[232:233], v[0:1], v[40:41]
	v_mul_f64 v[0:1], v[234:235], v[0:1]
	v_fma_f64 v[42:43], v[232:233], v[2:3], -v[0:1]
	v_mul_f64 v[0:1], v[242:243], v[10:11]
	s_delay_alu instid0(VALU_DEP_1) | instskip(SKIP_1) | instid1(VALU_DEP_1)
	v_fma_f64 v[44:45], v[240:241], v[8:9], v[0:1]
	v_mul_f64 v[0:1], v[242:243], v[8:9]
	v_fma_f64 v[46:47], v[240:241], v[10:11], -v[0:1]
	ds_load_b128 v[0:3], v160 offset:18720
	ds_load_b128 v[8:11], v160 offset:20592
	s_waitcnt lgkmcnt(1)
	v_mul_f64 v[48:49], v[230:231], v[2:3]
	s_delay_alu instid0(VALU_DEP_1) | instskip(SKIP_1) | instid1(VALU_DEP_1)
	v_fma_f64 v[48:49], v[228:229], v[0:1], v[48:49]
	v_mul_f64 v[0:1], v[230:231], v[0:1]
	v_fma_f64 v[50:51], v[228:229], v[2:3], -v[0:1]
	v_mul_f64 v[0:1], v[214:215], v[18:19]
	s_delay_alu instid0(VALU_DEP_1) | instskip(SKIP_1) | instid1(VALU_DEP_1)
	v_fma_f64 v[52:53], v[212:213], v[16:17], v[0:1]
	v_mul_f64 v[0:1], v[214:215], v[16:17]
	v_fma_f64 v[54:55], v[212:213], v[18:19], -v[0:1]
	;; [unrolled: 5-line block ×3, first 2 shown]
	v_mul_f64 v[0:1], v[254:255], v[14:15]
	s_delay_alu instid0(VALU_DEP_1) | instskip(SKIP_2) | instid1(VALU_DEP_2)
	v_fma_f64 v[60:61], v[252:253], v[12:13], v[0:1]
	v_mul_f64 v[0:1], v[254:255], v[12:13]
	v_add_f64 v[12:13], v[28:29], v[32:33]
	v_fma_f64 v[62:63], v[252:253], v[14:15], -v[0:1]
	s_waitcnt lgkmcnt(0)
	v_mul_f64 v[0:1], v[246:247], v[10:11]
	s_delay_alu instid0(VALU_DEP_1) | instskip(SKIP_1) | instid1(VALU_DEP_1)
	v_fma_f64 v[66:67], v[244:245], v[8:9], v[0:1]
	v_mul_f64 v[0:1], v[246:247], v[8:9]
	v_fma_f64 v[68:69], v[244:245], v[10:11], -v[0:1]
	ds_load_b128 v[0:3], v160 offset:26208
	s_waitcnt lgkmcnt(0)
	v_mul_f64 v[8:9], v[238:239], v[2:3]
	s_delay_alu instid0(VALU_DEP_1) | instskip(SKIP_1) | instid1(VALU_DEP_1)
	v_fma_f64 v[70:71], v[236:237], v[0:1], v[8:9]
	v_mul_f64 v[0:1], v[238:239], v[0:1]
	v_fma_f64 v[72:73], v[236:237], v[2:3], -v[0:1]
	v_add_f64 v[0:1], v[24:25], -v[28:29]
	v_add_f64 v[2:3], v[36:37], -v[32:33]
	s_delay_alu instid0(VALU_DEP_1) | instskip(SKIP_2) | instid1(VALU_DEP_1)
	v_add_f64 v[16:17], v[0:1], v[2:3]
	v_add_f64 v[0:1], v[26:27], -v[30:31]
	v_add_f64 v[2:3], v[38:39], -v[34:35]
	v_add_f64 v[18:19], v[0:1], v[2:3]
	ds_load_b128 v[0:3], v160
	ds_load_b128 v[8:11], v160 offset:1872
	s_waitcnt lgkmcnt(1)
	v_fma_f64 v[20:21], v[12:13], -0.5, v[0:1]
	v_add_f64 v[12:13], v[30:31], v[34:35]
	s_delay_alu instid0(VALU_DEP_1) | instskip(NEXT) | instid1(VALU_DEP_3)
	v_fma_f64 v[22:23], v[12:13], -0.5, v[2:3]
	v_fma_f64 v[12:13], v[74:75], s[8:9], v[20:21]
	v_fma_f64 v[20:21], v[74:75], s[12:13], v[20:21]
	s_delay_alu instid0(VALU_DEP_3) | instskip(NEXT) | instid1(VALU_DEP_3)
	v_fma_f64 v[14:15], v[78:79], s[12:13], v[22:23]
	v_fma_f64 v[12:13], v[76:77], s[0:1], v[12:13]
	;; [unrolled: 1-line block ×3, first 2 shown]
	s_delay_alu instid0(VALU_DEP_4) | instskip(NEXT) | instid1(VALU_DEP_4)
	v_fma_f64 v[20:21], v[76:77], s[2:3], v[20:21]
	v_fma_f64 v[14:15], v[80:81], s[2:3], v[14:15]
	s_delay_alu instid0(VALU_DEP_4) | instskip(NEXT) | instid1(VALU_DEP_4)
	v_fma_f64 v[12:13], v[16:17], s[14:15], v[12:13]
	v_fma_f64 v[22:23], v[80:81], s[0:1], v[22:23]
	s_delay_alu instid0(VALU_DEP_4) | instskip(SKIP_2) | instid1(VALU_DEP_4)
	v_fma_f64 v[16:17], v[16:17], s[14:15], v[20:21]
	v_add_f64 v[20:21], v[24:25], v[36:37]
	v_fma_f64 v[14:15], v[18:19], s[14:15], v[14:15]
	v_fma_f64 v[18:19], v[18:19], s[14:15], v[22:23]
	v_add_f64 v[22:23], v[26:27], v[38:39]
	s_delay_alu instid0(VALU_DEP_4) | instskip(SKIP_2) | instid1(VALU_DEP_4)
	v_fma_f64 v[20:21], v[20:21], -0.5, v[0:1]
	v_add_f64 v[0:1], v[0:1], v[24:25]
	v_add_f64 v[24:25], v[28:29], -v[24:25]
	v_fma_f64 v[22:23], v[22:23], -0.5, v[2:3]
	v_add_f64 v[2:3], v[2:3], v[26:27]
	s_delay_alu instid0(VALU_DEP_4) | instskip(SKIP_2) | instid1(VALU_DEP_4)
	v_add_f64 v[0:1], v[0:1], v[28:29]
	v_add_f64 v[26:27], v[30:31], -v[26:27]
	v_add_f64 v[28:29], v[32:33], -v[36:37]
	v_add_f64 v[2:3], v[2:3], v[30:31]
	s_delay_alu instid0(VALU_DEP_4)
	v_add_f64 v[0:1], v[0:1], v[32:33]
	v_add_f64 v[30:31], v[34:35], -v[38:39]
	v_fma_f64 v[32:33], v[76:77], s[12:13], v[20:21]
	v_fma_f64 v[20:21], v[76:77], s[8:9], v[20:21]
	v_add_f64 v[24:25], v[24:25], v[28:29]
	v_add_f64 v[76:77], v[46:47], -v[50:51]
	v_add_f64 v[2:3], v[2:3], v[34:35]
	v_fma_f64 v[34:35], v[80:81], s[8:9], v[22:23]
	v_add_f64 v[26:27], v[26:27], v[30:31]
	v_fma_f64 v[28:29], v[74:75], s[0:1], v[32:33]
	v_fma_f64 v[30:31], v[74:75], s[2:3], v[20:21]
	;; [unrolled: 1-line block ×3, first 2 shown]
	v_add_f64 v[0:1], v[0:1], v[36:37]
	v_add_f64 v[74:75], v[42:43], -v[54:55]
	v_add_f64 v[80:81], v[44:45], -v[48:49]
	v_add_f64 v[2:3], v[2:3], v[38:39]
	v_fma_f64 v[32:33], v[78:79], s[2:3], v[34:35]
	v_fma_f64 v[20:21], v[24:25], s[14:15], v[28:29]
	;; [unrolled: 1-line block ×3, first 2 shown]
	v_add_f64 v[28:29], v[40:41], -v[44:45]
	v_add_f64 v[30:31], v[52:53], -v[48:49]
	v_fma_f64 v[34:35], v[78:79], s[0:1], v[22:23]
	v_add_f64 v[78:79], v[40:41], -v[52:53]
	v_fma_f64 v[22:23], v[26:27], s[14:15], v[32:33]
	s_delay_alu instid0(VALU_DEP_4) | instskip(SKIP_3) | instid1(VALU_DEP_2)
	v_add_f64 v[32:33], v[28:29], v[30:31]
	v_add_f64 v[28:29], v[42:43], -v[46:47]
	v_add_f64 v[30:31], v[54:55], -v[50:51]
	v_fma_f64 v[26:27], v[26:27], s[14:15], v[34:35]
	v_add_f64 v[34:35], v[28:29], v[30:31]
	v_add_f64 v[28:29], v[44:45], v[48:49]
	s_waitcnt lgkmcnt(0)
	s_delay_alu instid0(VALU_DEP_1) | instskip(SKIP_1) | instid1(VALU_DEP_1)
	v_fma_f64 v[36:37], v[28:29], -0.5, v[8:9]
	v_add_f64 v[28:29], v[46:47], v[50:51]
	v_fma_f64 v[38:39], v[28:29], -0.5, v[10:11]
	s_delay_alu instid0(VALU_DEP_3) | instskip(SKIP_1) | instid1(VALU_DEP_3)
	v_fma_f64 v[28:29], v[74:75], s[8:9], v[36:37]
	v_fma_f64 v[36:37], v[74:75], s[12:13], v[36:37]
	;; [unrolled: 1-line block ×3, first 2 shown]
	s_delay_alu instid0(VALU_DEP_3) | instskip(SKIP_1) | instid1(VALU_DEP_4)
	v_fma_f64 v[28:29], v[76:77], s[0:1], v[28:29]
	v_fma_f64 v[38:39], v[78:79], s[8:9], v[38:39]
	;; [unrolled: 1-line block ×3, first 2 shown]
	s_delay_alu instid0(VALU_DEP_4) | instskip(NEXT) | instid1(VALU_DEP_4)
	v_fma_f64 v[30:31], v[80:81], s[2:3], v[30:31]
	v_fma_f64 v[28:29], v[32:33], s[14:15], v[28:29]
	s_delay_alu instid0(VALU_DEP_4) | instskip(NEXT) | instid1(VALU_DEP_4)
	v_fma_f64 v[38:39], v[80:81], s[0:1], v[38:39]
	v_fma_f64 v[32:33], v[32:33], s[14:15], v[36:37]
	v_add_f64 v[36:37], v[40:41], v[52:53]
	v_fma_f64 v[30:31], v[34:35], s[14:15], v[30:31]
	s_delay_alu instid0(VALU_DEP_4) | instskip(SKIP_1) | instid1(VALU_DEP_4)
	v_fma_f64 v[34:35], v[34:35], s[14:15], v[38:39]
	v_add_f64 v[38:39], v[42:43], v[54:55]
	v_fma_f64 v[36:37], v[36:37], -0.5, v[8:9]
	v_add_f64 v[8:9], v[8:9], v[40:41]
	v_add_f64 v[40:41], v[44:45], -v[40:41]
	s_delay_alu instid0(VALU_DEP_4) | instskip(SKIP_1) | instid1(VALU_DEP_4)
	v_fma_f64 v[38:39], v[38:39], -0.5, v[10:11]
	v_add_f64 v[10:11], v[10:11], v[42:43]
	v_add_f64 v[8:9], v[8:9], v[44:45]
	v_add_f64 v[42:43], v[46:47], -v[42:43]
	v_add_f64 v[44:45], v[48:49], -v[52:53]
	s_delay_alu instid0(VALU_DEP_4) | instskip(NEXT) | instid1(VALU_DEP_4)
	v_add_f64 v[10:11], v[10:11], v[46:47]
	v_add_f64 v[8:9], v[8:9], v[48:49]
	v_add_f64 v[46:47], v[50:51], -v[54:55]
	v_fma_f64 v[48:49], v[76:77], s[12:13], v[36:37]
	v_fma_f64 v[36:37], v[76:77], s[8:9], v[36:37]
	v_add_f64 v[40:41], v[40:41], v[44:45]
	v_add_f64 v[76:77], v[58:59], -v[72:73]
	v_add_f64 v[10:11], v[10:11], v[50:51]
	v_fma_f64 v[50:51], v[80:81], s[8:9], v[38:39]
	v_add_f64 v[42:43], v[42:43], v[46:47]
	v_fma_f64 v[44:45], v[74:75], s[0:1], v[48:49]
	v_fma_f64 v[46:47], v[74:75], s[2:3], v[36:37]
	;; [unrolled: 1-line block ×3, first 2 shown]
	v_add_f64 v[8:9], v[8:9], v[52:53]
	v_add_f64 v[74:75], v[62:63], -v[68:69]
	v_add_f64 v[80:81], v[56:57], -v[70:71]
	v_add_f64 v[10:11], v[10:11], v[54:55]
	v_fma_f64 v[48:49], v[78:79], s[2:3], v[50:51]
	v_fma_f64 v[36:37], v[40:41], s[14:15], v[44:45]
	v_fma_f64 v[40:41], v[40:41], s[14:15], v[46:47]
	v_add_f64 v[44:45], v[60:61], -v[56:57]
	v_add_f64 v[46:47], v[66:67], -v[70:71]
	v_fma_f64 v[50:51], v[78:79], s[0:1], v[38:39]
	v_add_f64 v[78:79], v[60:61], -v[66:67]
	v_fma_f64 v[38:39], v[42:43], s[14:15], v[48:49]
	s_delay_alu instid0(VALU_DEP_4) | instskip(SKIP_3) | instid1(VALU_DEP_2)
	v_add_f64 v[48:49], v[44:45], v[46:47]
	v_add_f64 v[44:45], v[62:63], -v[58:59]
	v_add_f64 v[46:47], v[68:69], -v[72:73]
	v_fma_f64 v[42:43], v[42:43], s[14:15], v[50:51]
	v_add_f64 v[50:51], v[44:45], v[46:47]
	v_add_f64 v[44:45], v[56:57], v[70:71]
	s_delay_alu instid0(VALU_DEP_1) | instskip(SKIP_1) | instid1(VALU_DEP_1)
	v_fma_f64 v[52:53], v[44:45], -0.5, v[4:5]
	v_add_f64 v[44:45], v[58:59], v[72:73]
	v_fma_f64 v[54:55], v[44:45], -0.5, v[6:7]
	s_delay_alu instid0(VALU_DEP_3) | instskip(SKIP_1) | instid1(VALU_DEP_3)
	v_fma_f64 v[44:45], v[74:75], s[12:13], v[52:53]
	v_fma_f64 v[52:53], v[74:75], s[8:9], v[52:53]
	;; [unrolled: 1-line block ×4, first 2 shown]
	s_delay_alu instid0(VALU_DEP_4) | instskip(NEXT) | instid1(VALU_DEP_4)
	v_fma_f64 v[44:45], v[76:77], s[0:1], v[44:45]
	v_fma_f64 v[52:53], v[76:77], s[2:3], v[52:53]
	s_delay_alu instid0(VALU_DEP_4) | instskip(NEXT) | instid1(VALU_DEP_4)
	v_fma_f64 v[46:47], v[80:81], s[2:3], v[46:47]
	v_fma_f64 v[54:55], v[80:81], s[0:1], v[54:55]
	;; [unrolled: 3-line block ×3, first 2 shown]
	v_add_f64 v[52:53], v[60:61], v[66:67]
	v_fma_f64 v[46:47], v[50:51], s[14:15], v[46:47]
	v_fma_f64 v[50:51], v[50:51], s[14:15], v[54:55]
	v_add_f64 v[54:55], v[62:63], v[68:69]
	s_delay_alu instid0(VALU_DEP_4) | instskip(SKIP_2) | instid1(VALU_DEP_4)
	v_fma_f64 v[52:53], v[52:53], -0.5, v[4:5]
	v_add_f64 v[4:5], v[4:5], v[56:57]
	v_add_f64 v[56:57], v[56:57], -v[60:61]
	v_fma_f64 v[54:55], v[54:55], -0.5, v[6:7]
	v_add_f64 v[6:7], v[6:7], v[58:59]
	v_add_f64 v[58:59], v[58:59], -v[62:63]
	v_add_f64 v[4:5], v[4:5], v[60:61]
	v_add_f64 v[60:61], v[70:71], -v[66:67]
	s_delay_alu instid0(VALU_DEP_4) | instskip(SKIP_1) | instid1(VALU_DEP_4)
	v_add_f64 v[6:7], v[6:7], v[62:63]
	v_add_f64 v[62:63], v[72:73], -v[68:69]
	v_add_f64 v[4:5], v[4:5], v[66:67]
	v_fma_f64 v[66:67], v[76:77], s[8:9], v[52:53]
	v_fma_f64 v[52:53], v[76:77], s[12:13], v[52:53]
	v_add_f64 v[56:57], v[56:57], v[60:61]
	v_add_f64 v[6:7], v[6:7], v[68:69]
	v_fma_f64 v[68:69], v[80:81], s[12:13], v[54:55]
	v_fma_f64 v[54:55], v[80:81], s[8:9], v[54:55]
	v_add_f64 v[58:59], v[58:59], v[62:63]
	v_fma_f64 v[60:61], v[74:75], s[0:1], v[66:67]
	v_fma_f64 v[62:63], v[74:75], s[2:3], v[52:53]
	v_add_f64 v[4:5], v[4:5], v[70:71]
	v_add_f64 v[6:7], v[6:7], v[72:73]
	v_fma_f64 v[66:67], v[78:79], s[2:3], v[68:69]
	v_fma_f64 v[68:69], v[78:79], s[0:1], v[54:55]
	s_mul_i32 s1, s5, 0x87
	v_fma_f64 v[52:53], v[56:57], s[14:15], v[60:61]
	v_fma_f64 v[56:57], v[56:57], s[14:15], v[62:63]
	s_mul_hi_u32 s3, s4, 0x87
	s_mul_i32 s2, s4, 0x87
	s_add_i32 s3, s3, s1
	s_delay_alu instid0(SALU_CYCLE_1) | instskip(NEXT) | instid1(VALU_DEP_4)
	s_lshl_b64 s[2:3], s[2:3], 4
	v_fma_f64 v[54:55], v[58:59], s[14:15], v[66:67]
	s_delay_alu instid0(VALU_DEP_4)
	v_fma_f64 v[58:59], v[58:59], s[14:15], v[68:69]
	ds_store_b128 v160, v[0:3]
	ds_store_b128 v160, v[8:11] offset:1872
	ds_store_b128 v160, v[20:23] offset:11232
	;; [unrolled: 1-line block ×14, first 2 shown]
	s_waitcnt lgkmcnt(0)
	s_barrier
	buffer_gl0_inv
	ds_load_b128 v[0:3], v160
	ds_load_b128 v[4:7], v160 offset:2160
	s_clause 0xc
	scratch_load_b128 v[12:15], off, off offset:232
	scratch_load_b128 v[16:19], off, off offset:248
	;; [unrolled: 1-line block ×13, first 2 shown]
	s_waitcnt vmcnt(12) lgkmcnt(1)
	v_mul_f64 v[8:9], v[14:15], v[2:3]
	v_mul_f64 v[10:11], v[14:15], v[0:1]
	s_waitcnt vmcnt(11) lgkmcnt(0)
	v_mul_f64 v[14:15], v[18:19], v[4:5]
	s_delay_alu instid0(VALU_DEP_3) | instskip(NEXT) | instid1(VALU_DEP_3)
	v_fma_f64 v[8:9], v[12:13], v[0:1], v[8:9]
	v_fma_f64 v[10:11], v[12:13], v[2:3], -v[10:11]
	v_mul_f64 v[12:13], v[18:19], v[6:7]
	ds_load_b128 v[0:3], v160 offset:4320
	v_fma_f64 v[14:15], v[16:17], v[6:7], -v[14:15]
	v_fma_f64 v[12:13], v[16:17], v[4:5], v[12:13]
	ds_load_b128 v[4:7], v160 offset:6480
	s_waitcnt vmcnt(10) lgkmcnt(1)
	v_mul_f64 v[16:17], v[22:23], v[2:3]
	v_mul_f64 v[18:19], v[22:23], v[0:1]
	s_waitcnt vmcnt(9) lgkmcnt(0)
	v_mul_f64 v[22:23], v[26:27], v[4:5]
	s_delay_alu instid0(VALU_DEP_3) | instskip(NEXT) | instid1(VALU_DEP_3)
	v_fma_f64 v[16:17], v[20:21], v[0:1], v[16:17]
	v_fma_f64 v[18:19], v[20:21], v[2:3], -v[18:19]
	v_mul_f64 v[20:21], v[26:27], v[6:7]
	ds_load_b128 v[0:3], v160 offset:8640
	v_fma_f64 v[22:23], v[24:25], v[6:7], -v[22:23]
	v_fma_f64 v[20:21], v[24:25], v[4:5], v[20:21]
	ds_load_b128 v[4:7], v160 offset:10800
	;; [unrolled: 13-line block ×3, first 2 shown]
	s_waitcnt vmcnt(4) lgkmcnt(1)
	v_mul_f64 v[32:33], v[38:39], v[2:3]
	v_mul_f64 v[34:35], v[38:39], v[0:1]
	s_waitcnt lgkmcnt(0)
	v_mul_f64 v[38:39], v[42:43], v[4:5]
	s_delay_alu instid0(VALU_DEP_3) | instskip(NEXT) | instid1(VALU_DEP_3)
	v_fma_f64 v[32:33], v[36:37], v[0:1], v[32:33]
	v_fma_f64 v[34:35], v[36:37], v[2:3], -v[34:35]
	v_mul_f64 v[36:37], v[42:43], v[6:7]
	ds_load_b128 v[0:3], v160 offset:17280
	v_fma_f64 v[38:39], v[40:41], v[6:7], -v[38:39]
	v_fma_f64 v[36:37], v[40:41], v[4:5], v[36:37]
	ds_load_b128 v[4:7], v160 offset:19440
	s_waitcnt vmcnt(2) lgkmcnt(1)
	v_mul_f64 v[40:41], v[46:47], v[2:3]
	v_mul_f64 v[42:43], v[46:47], v[0:1]
	s_waitcnt vmcnt(1) lgkmcnt(0)
	v_mul_f64 v[46:47], v[50:51], v[4:5]
	s_delay_alu instid0(VALU_DEP_3) | instskip(NEXT) | instid1(VALU_DEP_3)
	v_fma_f64 v[40:41], v[44:45], v[0:1], v[40:41]
	v_fma_f64 v[42:43], v[44:45], v[2:3], -v[42:43]
	v_mul_f64 v[44:45], v[50:51], v[6:7]
	ds_load_b128 v[0:3], v160 offset:21600
	v_fma_f64 v[46:47], v[48:49], v[6:7], -v[46:47]
	v_fma_f64 v[44:45], v[48:49], v[4:5], v[44:45]
	ds_load_b128 v[4:7], v160 offset:23760
	s_waitcnt lgkmcnt(1)
	v_mul_f64 v[48:49], v[54:55], v[2:3]
	v_mul_f64 v[50:51], v[54:55], v[0:1]
	s_delay_alu instid0(VALU_DEP_2) | instskip(NEXT) | instid1(VALU_DEP_2)
	v_fma_f64 v[48:49], v[52:53], v[0:1], v[48:49]
	v_fma_f64 v[50:51], v[52:53], v[2:3], -v[50:51]
	scratch_load_b64 v[52:53], off, off offset:224 ; 8-byte Folded Reload
	s_waitcnt lgkmcnt(0)
	v_mul_f64 v[0:1], v[58:59], v[6:7]
	v_mul_f64 v[2:3], v[58:59], v[4:5]
	s_delay_alu instid0(VALU_DEP_2) | instskip(NEXT) | instid1(VALU_DEP_2)
	v_fma_f64 v[54:55], v[56:57], v[4:5], v[0:1]
	v_fma_f64 v[56:57], v[56:57], v[6:7], -v[2:3]
	ds_load_b128 v[0:3], v160 offset:25920
	v_mad_u64_u32 v[5:6], null, s4, v161, 0
	s_waitcnt vmcnt(0)
	v_mov_b32_e32 v60, v52
	s_delay_alu instid0(VALU_DEP_1) | instskip(NEXT) | instid1(VALU_DEP_1)
	v_mad_u64_u32 v[52:53], null, s6, v60, 0
	v_mov_b32_e32 v4, v53
	s_delay_alu instid0(VALU_DEP_1)
	v_mad_u64_u32 v[58:59], null, s7, v60, v[4:5]
	s_waitcnt lgkmcnt(0)
	v_mul_f64 v[60:61], v[70:71], v[0:1]
	v_mov_b32_e32 v4, v6
	s_mov_b32 s6, 0x68012abd
	s_mov_b32 s7, 0x3f42abd5
	s_delay_alu instid0(VALU_DEP_3) | instskip(SKIP_2) | instid1(VALU_DEP_3)
	v_mov_b32_e32 v53, v58
	v_mul_f64 v[58:59], v[70:71], v[2:3]
	v_mad_u64_u32 v[6:7], null, s5, v161, v[4:5]
	v_lshlrev_b64 v[52:53], 4, v[52:53]
	s_delay_alu instid0(VALU_DEP_2) | instskip(NEXT) | instid1(VALU_DEP_2)
	v_lshlrev_b64 v[4:5], 4, v[5:6]
	v_add_co_u32 v6, s0, s10, v52
	s_delay_alu instid0(VALU_DEP_1) | instskip(NEXT) | instid1(VALU_DEP_2)
	v_add_co_ci_u32_e64 v7, s0, s11, v53, s0
	v_add_co_u32 v52, s0, v6, v4
	s_delay_alu instid0(VALU_DEP_1) | instskip(SKIP_1) | instid1(VALU_DEP_3)
	v_add_co_ci_u32_e64 v53, s0, v7, v5, s0
	v_mul_f64 v[4:5], v[12:13], s[6:7]
	v_add_co_u32 v62, s0, v52, s2
	s_delay_alu instid0(VALU_DEP_1) | instskip(SKIP_1) | instid1(VALU_DEP_3)
	v_add_co_ci_u32_e64 v63, s0, s3, v53, s0
	v_mul_f64 v[6:7], v[14:15], s[6:7]
	v_add_co_u32 v66, s0, v62, s2
	s_delay_alu instid0(VALU_DEP_1)
	v_add_co_ci_u32_e64 v67, s0, s3, v63, s0
	v_mul_f64 v[12:13], v[20:21], s[6:7]
	v_mul_f64 v[14:15], v[22:23], s[6:7]
	v_fma_f64 v[60:61], v[68:69], v[2:3], -v[60:61]
	v_mul_f64 v[2:3], v[10:11], s[6:7]
	v_mul_f64 v[10:11], v[18:19], s[6:7]
	;; [unrolled: 1-line block ×6, first 2 shown]
	v_fma_f64 v[58:59], v[68:69], v[0:1], v[58:59]
	v_mul_f64 v[0:1], v[8:9], s[6:7]
	v_add_co_u32 v68, s0, v66, s2
	s_delay_alu instid0(VALU_DEP_1) | instskip(SKIP_1) | instid1(VALU_DEP_3)
	v_add_co_ci_u32_e64 v69, s0, s3, v67, s0
	v_mul_f64 v[8:9], v[16:17], s[6:7]
	v_add_co_u32 v70, s0, v68, s2
	s_delay_alu instid0(VALU_DEP_1) | instskip(SKIP_1) | instid1(VALU_DEP_3)
	v_add_co_ci_u32_e64 v71, s0, s3, v69, s0
	;; [unrolled: 4-line block ×3, first 2 shown]
	v_mul_f64 v[18:19], v[26:27], s[6:7]
	v_add_co_u32 v54, s0, v72, s2
	v_mul_f64 v[22:23], v[30:31], s[6:7]
	s_delay_alu instid0(VALU_DEP_4)
	v_add_co_ci_u32_e64 v55, s0, s3, v73, s0
	v_mul_f64 v[24:25], v[32:33], s[6:7]
	v_mul_f64 v[26:27], v[34:35], s[6:7]
	;; [unrolled: 1-line block ×11, first 2 shown]
	global_store_b128 v[52:53], v[0:3], off
	v_add_co_u32 v2, s0, v54, s2
	s_delay_alu instid0(VALU_DEP_1) | instskip(SKIP_2) | instid1(VALU_DEP_1)
	v_add_co_ci_u32_e64 v3, s0, s3, v55, s0
	global_store_b128 v[62:63], v[4:7], off
	v_add_co_u32 v52, s0, v2, s2
	v_add_co_ci_u32_e64 v53, s0, s3, v3, s0
	s_delay_alu instid0(VALU_DEP_2) | instskip(NEXT) | instid1(VALU_DEP_1)
	v_add_co_u32 v56, s0, v52, s2
	v_add_co_ci_u32_e64 v57, s0, s3, v53, s0
	s_delay_alu instid0(VALU_DEP_2) | instskip(NEXT) | instid1(VALU_DEP_1)
	;; [unrolled: 3-line block ×4, first 2 shown]
	v_add_co_u32 v0, s0, v6, s2
	v_add_co_ci_u32_e64 v1, s0, s3, v7, s0
	s_clause 0x2
	global_store_b128 v[66:67], v[8:11], off
	global_store_b128 v[68:69], v[12:15], off
	;; [unrolled: 1-line block ×11, first 2 shown]
	s_and_b32 exec_lo, exec_lo, vcc_lo
	s_cbranch_execz .LBB0_15
; %bb.14:
	global_load_b128 v[2:5], v[64:65], off offset:1872
	ds_load_b128 v[6:9], v160 offset:1872
	ds_load_b128 v[10:13], v160 offset:4032
	s_mul_i32 s0, s5, 0xffffa210
	s_delay_alu instid0(SALU_CYCLE_1) | instskip(SKIP_3) | instid1(VALU_DEP_2)
	s_sub_i32 s0, s0, s4
	s_waitcnt vmcnt(0) lgkmcnt(1)
	v_mul_f64 v[14:15], v[8:9], v[4:5]
	v_mul_f64 v[4:5], v[6:7], v[4:5]
	v_fma_f64 v[6:7], v[6:7], v[2:3], v[14:15]
	s_delay_alu instid0(VALU_DEP_2) | instskip(NEXT) | instid1(VALU_DEP_2)
	v_fma_f64 v[4:5], v[2:3], v[8:9], -v[4:5]
	v_mul_f64 v[2:3], v[6:7], s[6:7]
	s_delay_alu instid0(VALU_DEP_2) | instskip(SKIP_1) | instid1(VALU_DEP_1)
	v_mul_f64 v[4:5], v[4:5], s[6:7]
	v_mad_u64_u32 v[6:7], null, 0xffffa210, s4, v[0:1]
	v_add_nc_u32_e32 v7, s0, v7
	global_store_b128 v[6:7], v[2:5], off
	global_load_b128 v[0:3], v[64:65], off offset:4032
	s_waitcnt vmcnt(0) lgkmcnt(0)
	v_mul_f64 v[4:5], v[12:13], v[2:3]
	v_mul_f64 v[2:3], v[10:11], v[2:3]
	s_delay_alu instid0(VALU_DEP_2) | instskip(NEXT) | instid1(VALU_DEP_2)
	v_fma_f64 v[4:5], v[10:11], v[0:1], v[4:5]
	v_fma_f64 v[2:3], v[0:1], v[12:13], -v[2:3]
	v_add_co_u32 v12, vcc_lo, v6, s2
	v_add_co_ci_u32_e32 v13, vcc_lo, s3, v7, vcc_lo
	s_delay_alu instid0(VALU_DEP_4) | instskip(NEXT) | instid1(VALU_DEP_4)
	v_mul_f64 v[0:1], v[4:5], s[6:7]
	v_mul_f64 v[2:3], v[2:3], s[6:7]
	global_store_b128 v[12:13], v[0:3], off
	scratch_load_b64 v[0:1], off, off offset:216 ; 8-byte Folded Reload
	s_waitcnt vmcnt(0)
	global_load_b128 v[0:3], v[0:1], off offset:2096
	ds_load_b128 v[4:7], v160 offset:6192
	ds_load_b128 v[8:11], v160 offset:8352
	s_waitcnt vmcnt(0) lgkmcnt(1)
	v_mul_f64 v[14:15], v[6:7], v[2:3]
	v_mul_f64 v[2:3], v[4:5], v[2:3]
	s_delay_alu instid0(VALU_DEP_2) | instskip(SKIP_4) | instid1(VALU_DEP_3)
	v_fma_f64 v[4:5], v[4:5], v[0:1], v[14:15]
	scratch_load_b64 v[14:15], off, off offset:208 ; 8-byte Folded Reload
	v_fma_f64 v[2:3], v[0:1], v[6:7], -v[2:3]
	v_mul_f64 v[0:1], v[4:5], s[6:7]
	v_add_co_u32 v4, vcc_lo, v12, s2
	v_mul_f64 v[2:3], v[2:3], s[6:7]
	v_add_co_ci_u32_e32 v5, vcc_lo, s3, v13, vcc_lo
	s_delay_alu instid0(VALU_DEP_3) | instskip(NEXT) | instid1(VALU_DEP_2)
	v_add_co_u32 v12, vcc_lo, v4, s2
	v_add_co_ci_u32_e32 v13, vcc_lo, s3, v5, vcc_lo
	global_store_b128 v[4:5], v[0:3], off
	s_waitcnt vmcnt(0)
	global_load_b128 v[0:3], v[14:15], off offset:160
	s_waitcnt vmcnt(0) lgkmcnt(0)
	v_mul_f64 v[6:7], v[10:11], v[2:3]
	v_mul_f64 v[2:3], v[8:9], v[2:3]
	s_delay_alu instid0(VALU_DEP_2) | instskip(NEXT) | instid1(VALU_DEP_2)
	v_fma_f64 v[6:7], v[8:9], v[0:1], v[6:7]
	v_fma_f64 v[2:3], v[0:1], v[10:11], -v[2:3]
	s_delay_alu instid0(VALU_DEP_2) | instskip(NEXT) | instid1(VALU_DEP_2)
	v_mul_f64 v[0:1], v[6:7], s[6:7]
	v_mul_f64 v[2:3], v[2:3], s[6:7]
	global_store_b128 v[12:13], v[0:3], off
	global_load_b128 v[0:3], v[14:15], off offset:2320
	ds_load_b128 v[4:7], v160 offset:10512
	ds_load_b128 v[8:11], v160 offset:12672
	s_waitcnt vmcnt(0) lgkmcnt(1)
	v_mul_f64 v[14:15], v[6:7], v[2:3]
	v_mul_f64 v[2:3], v[4:5], v[2:3]
	s_delay_alu instid0(VALU_DEP_2) | instskip(SKIP_4) | instid1(VALU_DEP_3)
	v_fma_f64 v[4:5], v[4:5], v[0:1], v[14:15]
	scratch_load_b64 v[14:15], off, off offset:200 ; 8-byte Folded Reload
	v_fma_f64 v[2:3], v[0:1], v[6:7], -v[2:3]
	v_mul_f64 v[0:1], v[4:5], s[6:7]
	v_add_co_u32 v4, vcc_lo, v12, s2
	v_mul_f64 v[2:3], v[2:3], s[6:7]
	v_add_co_ci_u32_e32 v5, vcc_lo, s3, v13, vcc_lo
	s_delay_alu instid0(VALU_DEP_3) | instskip(NEXT) | instid1(VALU_DEP_2)
	v_add_co_u32 v12, vcc_lo, v4, s2
	v_add_co_ci_u32_e32 v13, vcc_lo, s3, v5, vcc_lo
	global_store_b128 v[4:5], v[0:3], off
	s_waitcnt vmcnt(0)
	global_load_b128 v[0:3], v[14:15], off offset:384
	s_waitcnt vmcnt(0) lgkmcnt(0)
	v_mul_f64 v[6:7], v[10:11], v[2:3]
	v_mul_f64 v[2:3], v[8:9], v[2:3]
	s_delay_alu instid0(VALU_DEP_2) | instskip(NEXT) | instid1(VALU_DEP_2)
	v_fma_f64 v[6:7], v[8:9], v[0:1], v[6:7]
	v_fma_f64 v[2:3], v[0:1], v[10:11], -v[2:3]
	s_delay_alu instid0(VALU_DEP_2) | instskip(NEXT) | instid1(VALU_DEP_2)
	v_mul_f64 v[0:1], v[6:7], s[6:7]
	v_mul_f64 v[2:3], v[2:3], s[6:7]
	global_store_b128 v[12:13], v[0:3], off
	;; [unrolled: 30-line block ×4, first 2 shown]
	global_load_b128 v[0:3], v[14:15], off offset:2992
	ds_load_b128 v[4:7], v160 offset:23472
	ds_load_b128 v[8:11], v160 offset:25632
	s_waitcnt vmcnt(0) lgkmcnt(1)
	v_mul_f64 v[14:15], v[6:7], v[2:3]
	v_mul_f64 v[2:3], v[4:5], v[2:3]
	s_delay_alu instid0(VALU_DEP_2) | instskip(NEXT) | instid1(VALU_DEP_2)
	v_fma_f64 v[4:5], v[4:5], v[0:1], v[14:15]
	v_fma_f64 v[2:3], v[0:1], v[6:7], -v[2:3]
	s_delay_alu instid0(VALU_DEP_2)
	v_mul_f64 v[0:1], v[4:5], s[6:7]
	v_add_co_u32 v4, vcc_lo, v12, s2
	v_add_co_ci_u32_e32 v5, vcc_lo, s3, v13, vcc_lo
	scratch_load_b64 v[12:13], off, off     ; 8-byte Folded Reload
	v_mul_f64 v[2:3], v[2:3], s[6:7]
	global_store_b128 v[4:5], v[0:3], off
	s_waitcnt vmcnt(0)
	global_load_b128 v[0:3], v[12:13], off offset:1056
	s_waitcnt vmcnt(0) lgkmcnt(0)
	v_mul_f64 v[6:7], v[10:11], v[2:3]
	v_mul_f64 v[2:3], v[8:9], v[2:3]
	s_delay_alu instid0(VALU_DEP_2) | instskip(NEXT) | instid1(VALU_DEP_2)
	v_fma_f64 v[6:7], v[8:9], v[0:1], v[6:7]
	v_fma_f64 v[2:3], v[0:1], v[10:11], -v[2:3]
	v_add_co_u32 v8, vcc_lo, v4, s2
	v_add_co_ci_u32_e32 v9, vcc_lo, s3, v5, vcc_lo
	s_delay_alu instid0(VALU_DEP_4) | instskip(NEXT) | instid1(VALU_DEP_4)
	v_mul_f64 v[0:1], v[6:7], s[6:7]
	v_mul_f64 v[2:3], v[2:3], s[6:7]
	ds_load_b128 v[4:7], v160 offset:27792
	global_store_b128 v[8:9], v[0:3], off
	global_load_b128 v[0:3], v[12:13], off offset:3216
	s_waitcnt vmcnt(0) lgkmcnt(0)
	v_mul_f64 v[10:11], v[6:7], v[2:3]
	v_mul_f64 v[2:3], v[4:5], v[2:3]
	s_delay_alu instid0(VALU_DEP_2) | instskip(NEXT) | instid1(VALU_DEP_2)
	v_fma_f64 v[4:5], v[4:5], v[0:1], v[10:11]
	v_fma_f64 v[2:3], v[0:1], v[6:7], -v[2:3]
	s_delay_alu instid0(VALU_DEP_2) | instskip(NEXT) | instid1(VALU_DEP_2)
	v_mul_f64 v[0:1], v[4:5], s[6:7]
	v_mul_f64 v[2:3], v[2:3], s[6:7]
	v_add_co_u32 v4, vcc_lo, v8, s2
	v_add_co_ci_u32_e32 v5, vcc_lo, s3, v9, vcc_lo
	global_store_b128 v[4:5], v[0:3], off
.LBB0_15:
	s_nop 0
	s_sendmsg sendmsg(MSG_DEALLOC_VGPRS)
	s_endpgm
	.section	.rodata,"a",@progbits
	.p2align	6, 0x0
	.amdhsa_kernel bluestein_single_fwd_len1755_dim1_dp_op_CI_CI
		.amdhsa_group_segment_fixed_size 28080
		.amdhsa_private_segment_fixed_size 864
		.amdhsa_kernarg_size 104
		.amdhsa_user_sgpr_count 15
		.amdhsa_user_sgpr_dispatch_ptr 0
		.amdhsa_user_sgpr_queue_ptr 0
		.amdhsa_user_sgpr_kernarg_segment_ptr 1
		.amdhsa_user_sgpr_dispatch_id 0
		.amdhsa_user_sgpr_private_segment_size 0
		.amdhsa_wavefront_size32 1
		.amdhsa_uses_dynamic_stack 0
		.amdhsa_enable_private_segment 1
		.amdhsa_system_sgpr_workgroup_id_x 1
		.amdhsa_system_sgpr_workgroup_id_y 0
		.amdhsa_system_sgpr_workgroup_id_z 0
		.amdhsa_system_sgpr_workgroup_info 0
		.amdhsa_system_vgpr_workitem_id 0
		.amdhsa_next_free_vgpr 256
		.amdhsa_next_free_sgpr 46
		.amdhsa_reserve_vcc 1
		.amdhsa_float_round_mode_32 0
		.amdhsa_float_round_mode_16_64 0
		.amdhsa_float_denorm_mode_32 3
		.amdhsa_float_denorm_mode_16_64 3
		.amdhsa_dx10_clamp 1
		.amdhsa_ieee_mode 1
		.amdhsa_fp16_overflow 0
		.amdhsa_workgroup_processor_mode 1
		.amdhsa_memory_ordered 1
		.amdhsa_forward_progress 0
		.amdhsa_shared_vgpr_count 0
		.amdhsa_exception_fp_ieee_invalid_op 0
		.amdhsa_exception_fp_denorm_src 0
		.amdhsa_exception_fp_ieee_div_zero 0
		.amdhsa_exception_fp_ieee_overflow 0
		.amdhsa_exception_fp_ieee_underflow 0
		.amdhsa_exception_fp_ieee_inexact 0
		.amdhsa_exception_int_div_zero 0
	.end_amdhsa_kernel
	.text
.Lfunc_end0:
	.size	bluestein_single_fwd_len1755_dim1_dp_op_CI_CI, .Lfunc_end0-bluestein_single_fwd_len1755_dim1_dp_op_CI_CI
                                        ; -- End function
	.section	.AMDGPU.csdata,"",@progbits
; Kernel info:
; codeLenInByte = 38796
; NumSgprs: 48
; NumVgprs: 256
; ScratchSize: 864
; MemoryBound: 0
; FloatMode: 240
; IeeeMode: 1
; LDSByteSize: 28080 bytes/workgroup (compile time only)
; SGPRBlocks: 5
; VGPRBlocks: 31
; NumSGPRsForWavesPerEU: 48
; NumVGPRsForWavesPerEU: 256
; Occupancy: 4
; WaveLimiterHint : 1
; COMPUTE_PGM_RSRC2:SCRATCH_EN: 1
; COMPUTE_PGM_RSRC2:USER_SGPR: 15
; COMPUTE_PGM_RSRC2:TRAP_HANDLER: 0
; COMPUTE_PGM_RSRC2:TGID_X_EN: 1
; COMPUTE_PGM_RSRC2:TGID_Y_EN: 0
; COMPUTE_PGM_RSRC2:TGID_Z_EN: 0
; COMPUTE_PGM_RSRC2:TIDIG_COMP_CNT: 0
	.text
	.p2alignl 7, 3214868480
	.fill 96, 4, 3214868480
	.type	__hip_cuid_c36cc80721b0d71,@object ; @__hip_cuid_c36cc80721b0d71
	.section	.bss,"aw",@nobits
	.globl	__hip_cuid_c36cc80721b0d71
__hip_cuid_c36cc80721b0d71:
	.byte	0                               ; 0x0
	.size	__hip_cuid_c36cc80721b0d71, 1

	.ident	"AMD clang version 19.0.0git (https://github.com/RadeonOpenCompute/llvm-project roc-6.4.0 25133 c7fe45cf4b819c5991fe208aaa96edf142730f1d)"
	.section	".note.GNU-stack","",@progbits
	.addrsig
	.addrsig_sym __hip_cuid_c36cc80721b0d71
	.amdgpu_metadata
---
amdhsa.kernels:
  - .args:
      - .actual_access:  read_only
        .address_space:  global
        .offset:         0
        .size:           8
        .value_kind:     global_buffer
      - .actual_access:  read_only
        .address_space:  global
        .offset:         8
        .size:           8
        .value_kind:     global_buffer
      - .actual_access:  read_only
        .address_space:  global
        .offset:         16
        .size:           8
        .value_kind:     global_buffer
      - .actual_access:  read_only
        .address_space:  global
        .offset:         24
        .size:           8
        .value_kind:     global_buffer
      - .actual_access:  read_only
        .address_space:  global
        .offset:         32
        .size:           8
        .value_kind:     global_buffer
      - .offset:         40
        .size:           8
        .value_kind:     by_value
      - .address_space:  global
        .offset:         48
        .size:           8
        .value_kind:     global_buffer
      - .address_space:  global
        .offset:         56
        .size:           8
        .value_kind:     global_buffer
      - .address_space:  global
        .offset:         64
        .size:           8
        .value_kind:     global_buffer
      - .address_space:  global
        .offset:         72
        .size:           8
        .value_kind:     global_buffer
      - .offset:         80
        .size:           4
        .value_kind:     by_value
      - .address_space:  global
        .offset:         88
        .size:           8
        .value_kind:     global_buffer
      - .address_space:  global
        .offset:         96
        .size:           8
        .value_kind:     global_buffer
    .group_segment_fixed_size: 28080
    .kernarg_segment_align: 8
    .kernarg_segment_size: 104
    .language:       OpenCL C
    .language_version:
      - 2
      - 0
    .max_flat_workgroup_size: 117
    .name:           bluestein_single_fwd_len1755_dim1_dp_op_CI_CI
    .private_segment_fixed_size: 864
    .sgpr_count:     48
    .sgpr_spill_count: 0
    .symbol:         bluestein_single_fwd_len1755_dim1_dp_op_CI_CI.kd
    .uniform_work_group_size: 1
    .uses_dynamic_stack: false
    .vgpr_count:     256
    .vgpr_spill_count: 259
    .wavefront_size: 32
    .workgroup_processor_mode: 1
amdhsa.target:   amdgcn-amd-amdhsa--gfx1100
amdhsa.version:
  - 1
  - 2
...

	.end_amdgpu_metadata
